;; amdgpu-corpus repo=ROCm/rocFFT kind=compiled arch=gfx1201 opt=O3
	.text
	.amdgcn_target "amdgcn-amd-amdhsa--gfx1201"
	.amdhsa_code_object_version 6
	.protected	bluestein_single_back_len312_dim1_dp_op_CI_CI ; -- Begin function bluestein_single_back_len312_dim1_dp_op_CI_CI
	.globl	bluestein_single_back_len312_dim1_dp_op_CI_CI
	.p2align	8
	.type	bluestein_single_back_len312_dim1_dp_op_CI_CI,@function
bluestein_single_back_len312_dim1_dp_op_CI_CI: ; @bluestein_single_back_len312_dim1_dp_op_CI_CI
; %bb.0:
	s_load_b128 s[8:11], s[0:1], 0x28
	v_mul_u32_u24_e32 v1, 0x9d9, v0
	v_mov_b32_e32 v246, 0
	s_mov_b32 s2, exec_lo
	s_delay_alu instid0(VALU_DEP_2) | instskip(NEXT) | instid1(VALU_DEP_1)
	v_lshrrev_b32_e32 v1, 16, v1
	v_lshl_add_u32 v245, ttmp9, 1, v1
	s_wait_kmcnt 0x0
	s_delay_alu instid0(VALU_DEP_1)
	v_cmpx_gt_u64_e64 s[8:9], v[245:246]
	s_cbranch_execz .LBB0_15
; %bb.1:
	v_mul_lo_u16 v2, v1, 26
	s_clause 0x1
	s_load_b64 s[12:13], s[0:1], 0x0
	s_load_b64 s[8:9], s[0:1], 0x38
	v_and_b32_e32 v1, 1, v1
	v_sub_nc_u16 v0, v0, v2
	s_delay_alu instid0(VALU_DEP_2) | instskip(NEXT) | instid1(VALU_DEP_2)
	v_cmp_eq_u32_e32 vcc_lo, 1, v1
	v_and_b32_e32 v136, 0xffff, v0
	v_cndmask_b32_e64 v137, 0, 0x138, vcc_lo
	v_cmp_gt_u16_e32 vcc_lo, 24, v0
	s_delay_alu instid0(VALU_DEP_3) | instskip(SKIP_1) | instid1(VALU_DEP_4)
	v_lshlrev_b32_e32 v138, 4, v136
	v_or_b32_e32 v135, 0x60, v136
	v_lshlrev_b32_e32 v246, 4, v137
	v_or_b32_e32 v255, 0xc0, v136
	v_or_b32_e32 v243, 0x120, v136
	s_and_saveexec_b32 s3, vcc_lo
	s_cbranch_execz .LBB0_3
; %bb.2:
	s_load_b64 s[4:5], s[0:1], 0x18
	s_wait_kmcnt 0x0
	s_load_b128 s[4:7], s[4:5], 0x0
	s_clause 0x3
	global_load_b128 v[0:3], v138, s[12:13]
	global_load_b128 v[4:7], v138, s[12:13] offset:384
	global_load_b128 v[8:11], v138, s[12:13] offset:768
	;; [unrolled: 1-line block ×3, first 2 shown]
	s_wait_kmcnt 0x0
	v_mad_co_u64_u32 v[32:33], null, s6, v245, 0
	v_mad_co_u64_u32 v[34:35], null, s4, v136, 0
	v_mad_co_u64_u32 v[46:47], null, s4, v255, 0
	v_mad_co_u64_u32 v[44:45], null, s4, v135, 0
	s_delay_alu instid0(VALU_DEP_4) | instskip(SKIP_1) | instid1(VALU_DEP_4)
	v_mov_b32_e32 v16, v33
	v_mad_co_u64_u32 v[48:49], null, s4, v243, 0
	v_dual_mov_b32 v24, v35 :: v_dual_mov_b32 v37, v47
	s_delay_alu instid0(VALU_DEP_3)
	v_mad_co_u64_u32 v[25:26], null, s7, v245, v[16:17]
	s_mul_u64 s[6:7], s[4:5], 0x180
	s_clause 0x1
	global_load_b128 v[16:19], v138, s[12:13] offset:1536
	global_load_b128 v[20:23], v138, s[12:13] offset:1920
	v_mov_b32_e32 v33, v25
	v_mad_co_u64_u32 v[35:36], null, s5, v136, v[24:25]
	v_mov_b32_e32 v36, v45
	s_clause 0x1
	global_load_b128 v[24:27], v138, s[12:13] offset:2304
	global_load_b128 v[28:31], v138, s[12:13] offset:2688
	v_lshlrev_b64_e32 v[32:33], 4, v[32:33]
	v_mad_co_u64_u32 v[40:41], null, s5, v135, v[36:37]
	v_lshlrev_b64_e32 v[34:35], 4, v[34:35]
	s_delay_alu instid0(VALU_DEP_3) | instskip(NEXT) | instid1(VALU_DEP_1)
	v_add_co_u32 v56, s2, s10, v32
	v_add_co_ci_u32_e64 v57, s2, s11, v33, s2
	v_mad_co_u64_u32 v[41:42], null, s5, v255, v[37:38]
	v_mov_b32_e32 v45, v40
	s_delay_alu instid0(VALU_DEP_4) | instskip(SKIP_2) | instid1(VALU_DEP_4)
	v_add_co_u32 v50, s2, v56, v34
	s_wait_alu 0xf1ff
	v_add_co_ci_u32_e64 v51, s2, v57, v35, s2
	v_dual_mov_b32 v32, v49 :: v_dual_mov_b32 v47, v41
	s_wait_alu 0xfffe
	v_add_co_u32 v60, s2, v50, s6
	s_wait_alu 0xf1ff
	v_add_co_ci_u32_e64 v61, s2, s7, v51, s2
	v_lshlrev_b64_e32 v[44:45], 4, v[44:45]
	s_delay_alu instid0(VALU_DEP_3) | instskip(SKIP_1) | instid1(VALU_DEP_3)
	v_add_co_u32 v64, s2, v60, s6
	s_wait_alu 0xf1ff
	v_add_co_ci_u32_e64 v65, s2, s7, v61, s2
	v_mad_co_u64_u32 v[42:43], null, s5, v243, v[32:33]
	s_delay_alu instid0(VALU_DEP_3) | instskip(SKIP_1) | instid1(VALU_DEP_3)
	v_add_co_u32 v68, s2, v64, s6
	s_wait_alu 0xf1ff
	v_add_co_ci_u32_e64 v69, s2, s7, v65, s2
	s_mulk_i32 s5, 0x300
	v_lshlrev_b64_e32 v[46:47], 4, v[46:47]
	v_add_co_u32 v52, s2, v56, v44
	s_delay_alu instid0(VALU_DEP_3)
	v_mad_co_u64_u32 v[72:73], null, 0x300, s4, v[68:69]
	s_wait_alu 0xf1ff
	v_add_co_ci_u32_e64 v53, s2, v57, v45, s2
	v_mov_b32_e32 v49, v42
	s_clause 0x2
	global_load_b128 v[32:35], v138, s[12:13] offset:3072
	global_load_b128 v[36:39], v138, s[12:13] offset:3456
	;; [unrolled: 1-line block ×3, first 2 shown]
	s_wait_alu 0xfffe
	v_add_nc_u32_e32 v73, s5, v73
	v_add_co_u32 v76, s2, v72, s6
	v_lshlrev_b64_e32 v[48:49], 4, v[48:49]
	s_wait_alu 0xf1ff
	s_delay_alu instid0(VALU_DEP_3)
	v_add_co_ci_u32_e64 v77, s2, s7, v73, s2
	v_add_co_u32 v54, s2, v56, v46
	s_wait_alu 0xf1ff
	v_add_co_ci_u32_e64 v55, s2, v57, v47, s2
	v_add_co_u32 v80, s2, v76, s6
	s_wait_alu 0xf1ff
	v_add_co_ci_u32_e64 v81, s2, s7, v77, s2
	v_add_co_u32 v56, s2, v56, v48
	s_wait_alu 0xf1ff
	v_add_co_ci_u32_e64 v57, s2, v57, v49, s2
	s_delay_alu instid0(VALU_DEP_3)
	v_mad_co_u64_u32 v[84:85], null, 0x300, s4, v[80:81]
	s_clause 0x7
	global_load_b128 v[44:47], v[50:51], off
	global_load_b128 v[48:51], v[52:53], off
	;; [unrolled: 1-line block ×10, first 2 shown]
	v_add_nc_u32_e32 v85, s5, v85
	v_add_co_u32 v88, s2, v84, s6
	s_wait_alu 0xf1ff
	s_delay_alu instid0(VALU_DEP_2) | instskip(NEXT) | instid1(VALU_DEP_2)
	v_add_co_ci_u32_e64 v89, s2, s7, v85, s2
	v_add_co_u32 v100, s2, v88, s6
	s_wait_alu 0xf1ff
	s_delay_alu instid0(VALU_DEP_2)
	v_add_co_ci_u32_e64 v101, s2, s7, v89, s2
	global_load_b128 v[84:87], v[84:85], off
	global_load_b128 v[88:91], v[88:89], off
	s_clause 0x1
	global_load_b128 v[92:95], v138, s[12:13] offset:3840
	global_load_b128 v[96:99], v138, s[12:13] offset:4224
	global_load_b128 v[100:103], v[100:101], off
	s_wait_loadcnt 0xe
	v_mul_f64_e32 v[104:105], v[46:47], v[2:3]
	v_mul_f64_e32 v[2:3], v[44:45], v[2:3]
	s_wait_loadcnt 0xd
	v_mul_f64_e32 v[106:107], v[50:51], v[18:19]
	v_mul_f64_e32 v[18:19], v[48:49], v[18:19]
	;; [unrolled: 3-line block ×9, first 2 shown]
	v_mul_f64_e32 v[110:111], v[58:59], v[42:43]
	v_mul_f64_e32 v[144:145], v[56:57], v[42:43]
	s_wait_loadcnt 0x4
	v_mul_f64_e32 v[131:132], v[86:87], v[38:39]
	v_mul_f64_e32 v[38:39], v[84:85], v[38:39]
	s_wait_loadcnt 0x2
	;; [unrolled: 3-line block ×3, first 2 shown]
	v_mul_f64_e32 v[142:143], v[102:103], v[98:99]
	v_mul_f64_e32 v[98:99], v[100:101], v[98:99]
	v_fma_f64 v[42:43], v[44:45], v[0:1], v[104:105]
	v_fma_f64 v[44:45], v[46:47], v[0:1], -v[2:3]
	v_fma_f64 v[0:1], v[48:49], v[16:17], v[106:107]
	v_fma_f64 v[2:3], v[50:51], v[16:17], -v[18:19]
	;; [unrolled: 2-line block ×10, first 2 shown]
	v_lshl_add_u32 v4, v136, 4, v246
	v_fma_f64 v[34:35], v[84:85], v[36:37], v[131:132]
	v_fma_f64 v[36:37], v[86:87], v[36:37], -v[38:39]
	v_fma_f64 v[50:51], v[88:89], v[92:93], v[140:141]
	v_fma_f64 v[52:53], v[90:91], v[92:93], -v[94:95]
	v_fma_f64 v[54:55], v[100:101], v[96:97], v[142:143]
	v_fma_f64 v[56:57], v[102:103], v[96:97], -v[98:99]
	v_add_nc_u32_e32 v5, v246, v138
	ds_store_b128 v4, v[42:45]
	ds_store_b128 v5, v[30:33] offset:384
	ds_store_b128 v5, v[46:49] offset:768
	ds_store_b128 v5, v[10:13] offset:1152
	ds_store_b128 v5, v[0:3] offset:1536
	ds_store_b128 v5, v[18:21] offset:1920
	ds_store_b128 v5, v[22:25] offset:2304
	ds_store_b128 v5, v[26:29] offset:2688
	ds_store_b128 v5, v[14:17] offset:3072
	ds_store_b128 v5, v[34:37] offset:3456
	ds_store_b128 v5, v[50:53] offset:3840
	ds_store_b128 v5, v[54:57] offset:4224
	ds_store_b128 v5, v[6:9] offset:4608
.LBB0_3:
	s_or_b32 exec_lo, exec_lo, s3
	s_clause 0x1
	s_load_b64 s[4:5], s[0:1], 0x20
	s_load_b64 s[2:3], s[0:1], 0x8
	global_wb scope:SCOPE_SE
	s_wait_dscnt 0x0
	s_wait_kmcnt 0x0
	s_barrier_signal -1
	s_barrier_wait -1
	global_inv scope:SCOPE_SE
                                        ; implicit-def: $vgpr20_vgpr21
                                        ; implicit-def: $vgpr44_vgpr45
                                        ; implicit-def: $vgpr40_vgpr41
                                        ; implicit-def: $vgpr28_vgpr29
                                        ; implicit-def: $vgpr24_vgpr25
                                        ; implicit-def: $vgpr8_vgpr9
                                        ; implicit-def: $vgpr4_vgpr5
                                        ; implicit-def: $vgpr12_vgpr13
                                        ; implicit-def: $vgpr16_vgpr17
                                        ; implicit-def: $vgpr32_vgpr33
                                        ; implicit-def: $vgpr36_vgpr37
                                        ; implicit-def: $vgpr52_vgpr53
                                        ; implicit-def: $vgpr48_vgpr49
	s_and_saveexec_b32 s0, vcc_lo
	s_cbranch_execz .LBB0_5
; %bb.4:
	v_lshl_add_u32 v0, v137, 4, v138
	ds_load_b128 v[20:23], v0
	ds_load_b128 v[48:51], v0 offset:384
	ds_load_b128 v[52:55], v0 offset:768
	;; [unrolled: 1-line block ×12, first 2 shown]
.LBB0_5:
	s_wait_alu 0xfffe
	s_or_b32 exec_lo, exec_lo, s0
	s_wait_dscnt 0x0
	v_add_f64_e64 v[118:119], v[50:51], -v[6:7]
	v_add_f64_e64 v[82:83], v[48:49], -v[4:5]
	s_mov_b32 s0, 0x4267c47c
	s_mov_b32 s1, 0xbfddbe06
	v_add_f64_e32 v[80:81], v[4:5], v[48:49]
	v_add_f64_e32 v[120:121], v[6:7], v[50:51]
	v_add_f64_e64 v[88:89], v[54:55], -v[10:11]
	v_add_f64_e64 v[90:91], v[52:53], -v[8:9]
	s_mov_b32 s6, 0xe00740e9
	s_mov_b32 s14, 0x42a4c3d2
	s_mov_b32 s7, 0x3fec55a7
	s_mov_b32 s15, 0xbfea55e2
	v_add_f64_e32 v[70:71], v[8:9], v[52:53]
	v_add_f64_e32 v[122:123], v[10:11], v[54:55]
	v_add_f64_e64 v[100:101], v[46:47], -v[14:15]
	v_add_f64_e64 v[102:103], v[44:45], -v[12:13]
	s_mov_b32 s10, 0x1ea71119
	s_mov_b32 s18, 0x66966769
	;; [unrolled: 8-line block ×4, first 2 shown]
	s_mov_b32 s29, 0xbfd6b1d8
	s_mov_b32 s21, 0xbfe5384d
	v_add_f64_e32 v[62:63], v[24:25], v[36:37]
	v_add_f64_e32 v[114:115], v[26:27], v[38:39]
	s_wait_alu 0xfffe
	v_mul_f64_e32 v[92:93], s[0:1], v[118:119]
	v_mul_f64_e32 v[96:97], s[0:1], v[82:83]
	v_add_f64_e64 v[104:105], v[34:35], -v[30:31]
	s_mov_b32 s22, 0xd0032e0c
	s_mov_b32 s30, 0x4bc48dbf
	;; [unrolled: 1-line block ×3, first 2 shown]
	v_mul_f64_e32 v[78:79], s[14:15], v[88:89]
	v_mul_f64_e32 v[84:85], s[14:15], v[90:91]
	s_mov_b32 s31, 0xbfcea1e5
	v_add_f64_e32 v[116:117], v[30:31], v[34:35]
	s_mov_b32 s26, 0x93053d00
	s_mov_b32 s27, 0xbfef11f4
	v_mul_lo_u16 v128, v136, 13
	global_wb scope:SCOPE_SE
	v_mul_f64_e32 v[98:99], s[18:19], v[100:101]
	v_mul_f64_e32 v[108:109], s[18:19], v[102:103]
	s_barrier_signal -1
	s_barrier_wait -1
	global_inv scope:SCOPE_SE
	v_mul_f64_e32 v[112:113], s[24:25], v[110:111]
	v_mul_f64_e32 v[106:107], s[24:25], v[86:87]
	;; [unrolled: 1-line block ×4, first 2 shown]
	v_fma_f64 v[0:1], v[80:81], s[6:7], v[92:93]
	v_fma_f64 v[2:3], v[120:121], s[6:7], -v[96:97]
	v_fma_f64 v[56:57], v[70:71], s[10:11], v[78:79]
	v_fma_f64 v[58:59], v[122:123], s[10:11], -v[84:85]
	;; [unrolled: 2-line block ×3, first 2 shown]
	v_fma_f64 v[131:132], v[126:127], s[28:29], -v[112:113]
	v_fma_f64 v[129:130], v[64:65], s[28:29], v[106:107]
	v_fma_f64 v[142:143], v[114:115], s[22:23], -v[74:75]
	v_fma_f64 v[140:141], v[62:63], s[22:23], v[72:73]
	v_add_f64_e32 v[0:1], v[20:21], v[0:1]
	v_add_f64_e32 v[2:3], v[22:23], v[2:3]
	s_delay_alu instid0(VALU_DEP_2) | instskip(NEXT) | instid1(VALU_DEP_2)
	v_add_f64_e32 v[0:1], v[56:57], v[0:1]
	v_add_f64_e32 v[2:3], v[58:59], v[2:3]
	v_add_f64_e64 v[56:57], v[32:33], -v[28:29]
	v_add_f64_e32 v[58:59], v[28:29], v[32:33]
	s_delay_alu instid0(VALU_DEP_4) | instskip(NEXT) | instid1(VALU_DEP_4)
	v_add_f64_e32 v[0:1], v[66:67], v[0:1]
	v_add_f64_e32 v[2:3], v[68:69], v[2:3]
	v_mul_f64_e32 v[66:67], s[30:31], v[104:105]
	v_mul_f64_e32 v[68:69], s[30:31], v[56:57]
	s_delay_alu instid0(VALU_DEP_4) | instskip(NEXT) | instid1(VALU_DEP_4)
	v_add_f64_e32 v[0:1], v[129:130], v[0:1]
	v_add_f64_e32 v[2:3], v[131:132], v[2:3]
	s_delay_alu instid0(VALU_DEP_4) | instskip(NEXT) | instid1(VALU_DEP_4)
	v_fma_f64 v[129:130], v[58:59], s[26:27], v[66:67]
	v_fma_f64 v[131:132], v[116:117], s[26:27], -v[68:69]
	s_delay_alu instid0(VALU_DEP_4) | instskip(NEXT) | instid1(VALU_DEP_4)
	v_add_f64_e32 v[0:1], v[140:141], v[0:1]
	v_add_f64_e32 v[2:3], v[142:143], v[2:3]
	s_delay_alu instid0(VALU_DEP_2) | instskip(NEXT) | instid1(VALU_DEP_2)
	v_add_f64_e32 v[0:1], v[129:130], v[0:1]
	v_add_f64_e32 v[2:3], v[131:132], v[2:3]
	s_and_saveexec_b32 s33, vcc_lo
	s_cbranch_execz .LBB0_7
; %bb.6:
	v_add_f64_e32 v[50:51], v[22:23], v[50:51]
	v_add_f64_e32 v[48:49], v[20:21], v[48:49]
	v_mul_f64_e32 v[151:152], s[26:27], v[120:121]
	v_mul_f64_e32 v[153:154], s[30:31], v[118:119]
	;; [unrolled: 1-line block ×9, first 2 shown]
	s_mov_b32 s45, 0x3fedeba7
	s_mov_b32 s44, s24
	;; [unrolled: 1-line block ×12, first 2 shown]
	v_mul_f64_e32 v[131:132], s[16:17], v[124:125]
	v_mul_f64_e32 v[141:142], s[28:29], v[64:65]
	;; [unrolled: 1-line block ×15, first 2 shown]
	v_add_f64_e32 v[50:51], v[54:55], v[50:51]
	v_add_f64_e32 v[48:49], v[52:53], v[48:49]
	v_mul_f64_e32 v[52:53], s[10:11], v[70:71]
	v_mul_f64_e32 v[54:55], s[10:11], v[122:123]
	;; [unrolled: 1-line block ×8, first 2 shown]
	scratch_store_b128 off, v[0:3], off     ; 16-byte Folded Spill
	v_mul_f64_e32 v[205:206], s[26:27], v[116:117]
	v_mul_f64_e32 v[207:208], s[28:29], v[116:117]
	;; [unrolled: 1-line block ×7, first 2 shown]
	v_fma_f64 v[231:232], v[82:83], s[42:43], v[151:152]
	v_fma_f64 v[233:234], v[80:81], s[26:27], v[153:154]
	;; [unrolled: 1-line block ×3, first 2 shown]
	v_fma_f64 v[153:154], v[80:81], s[26:27], -v[153:154]
	v_fma_f64 v[241:242], v[82:83], s[34:35], v[161:162]
	v_dual_mov_b32 v2, v68 :: v_dual_mov_b32 v3, v69
	v_mov_b32_e32 v68, v136
	v_mov_b32_e32 v136, v246
	;; [unrolled: 1-line block ×3, first 2 shown]
	v_dual_mov_b32 v128, v137 :: v_dual_mov_b32 v137, v135
	v_mov_b32_e32 v135, v243
	v_fma_f64 v[243:244], v[80:81], s[22:23], v[163:164]
	v_fma_f64 v[161:162], v[82:83], s[20:21], v[161:162]
	v_fma_f64 v[163:164], v[80:81], s[22:23], -v[163:164]
	v_fma_f64 v[251:252], v[82:83], s[44:45], v[171:172]
	v_fma_f64 v[253:254], v[80:81], s[28:29], v[173:174]
	;; [unrolled: 1-line block ×3, first 2 shown]
	v_fma_f64 v[173:174], v[80:81], s[28:29], -v[173:174]
	v_add_f64_e32 v[46:47], v[46:47], v[50:51]
	v_add_f64_e32 v[44:45], v[44:45], v[48:49]
	v_mul_f64_e32 v[48:49], s[6:7], v[80:81]
	v_mul_f64_e32 v[50:51], s[6:7], v[120:121]
	;; [unrolled: 1-line block ×3, first 2 shown]
	v_fma_f64 v[139:140], v[82:83], s[38:39], v[181:182]
	v_mov_b32_e32 v0, v66
	v_mul_f64_e32 v[129:130], s[16:17], v[76:77]
	v_mul_f64_e32 v[165:166], s[20:21], v[100:101]
	;; [unrolled: 1-line block ×3, first 2 shown]
	v_fma_f64 v[225:226], v[110:111], s[14:15], v[145:146]
	v_fma_f64 v[227:228], v[102:103], s[34:35], v[147:148]
	;; [unrolled: 1-line block ×12, first 2 shown]
	v_mov_b32_e32 v1, v67
	v_fma_f64 v[247:248], v[102:103], s[0:1], v[167:168]
	v_fma_f64 v[249:250], v[90:91], s[20:21], v[169:170]
	;; [unrolled: 1-line block ×6, first 2 shown]
	v_add_f64_e32 v[231:232], v[22:23], v[231:232]
	v_add_f64_e32 v[233:234], v[20:21], v[233:234]
	;; [unrolled: 1-line block ×7, first 2 shown]
	v_add_f64_e64 v[106:107], v[141:142], -v[106:107]
	v_add_f64_e32 v[173:174], v[20:21], v[173:174]
	v_add_f64_e32 v[42:43], v[42:43], v[46:47]
	;; [unrolled: 1-line block ×3, first 2 shown]
	v_mul_f64_e32 v[46:47], s[16:17], v[126:127]
	v_mul_f64_e32 v[126:127], s[22:23], v[126:127]
	v_add_f64_e64 v[48:49], v[48:49], -v[92:93]
	v_mul_f64_e32 v[44:45], s[14:15], v[100:101]
	v_add_f64_e32 v[50:51], v[96:97], v[50:51]
	v_fma_f64 v[96:97], v[90:91], s[42:43], v[179:180]
	v_fma_f64 v[92:93], v[102:103], s[44:45], v[177:178]
	;; [unrolled: 1-line block ×3, first 2 shown]
	v_add_f64_e64 v[52:53], v[52:53], -v[78:79]
	v_fma_f64 v[78:79], v[70:71], s[28:29], v[189:190]
	v_fma_f64 v[189:190], v[70:71], s[28:29], -v[189:190]
	v_mul_f64_e32 v[191:192], s[18:19], v[86:87]
	v_add_f64_e32 v[112:113], v[112:113], v[143:144]
	v_mul_f64_e32 v[143:144], s[40:41], v[86:87]
	v_add_f64_e32 v[108:109], v[108:109], v[131:132]
	v_add_f64_e32 v[151:152], v[22:23], v[151:152]
	v_add_f64_e32 v[241:242], v[22:23], v[241:242]
	v_add_f64_e32 v[161:162], v[22:23], v[161:162]
	v_add_f64_e32 v[171:172], v[22:23], v[171:172]
	v_add_f64_e32 v[139:140], v[22:23], v[139:140]
	v_add_f64_e32 v[54:55], v[84:85], v[54:55]
	v_fma_f64 v[183:184], v[70:71], s[26:27], -v[183:184]
	v_add_f64_e64 v[98:99], v[129:130], -v[98:99]
	v_fma_f64 v[129:130], v[76:77], s[26:27], v[187:188]
	v_fma_f64 v[187:188], v[76:77], s[26:27], -v[187:188]
	v_mul_f64_e32 v[197:198], s[26:27], v[58:59]
	v_mul_f64_e32 v[203:204], s[24:25], v[94:95]
	v_add_f64_e32 v[229:230], v[229:230], v[231:232]
	v_mul_f64_e32 v[231:232], s[36:37], v[86:87]
	v_mul_f64_e32 v[223:224], s[14:15], v[94:95]
	;; [unrolled: 1-line block ×4, first 2 shown]
	v_add_f64_e32 v[249:250], v[249:250], v[251:252]
	v_mul_f64_e32 v[221:222], s[20:21], v[104:105]
	v_add_f64_e32 v[38:39], v[38:39], v[42:43]
	v_add_f64_e32 v[36:37], v[36:37], v[40:41]
	v_mul_f64_e32 v[40:41], s[6:7], v[116:117]
	v_mul_f64_e32 v[42:43], s[16:17], v[114:115]
	;; [unrolled: 1-line block ×5, first 2 shown]
	v_fma_f64 v[66:67], v[110:111], s[38:39], v[46:47]
	v_fma_f64 v[46:47], v[110:111], s[18:19], v[46:47]
	;; [unrolled: 1-line block ×3, first 2 shown]
	v_fma_f64 v[44:45], v[76:77], s[10:11], -v[44:45]
	v_add_f64_e32 v[149:150], v[149:150], v[151:152]
	v_add_f64_e32 v[239:240], v[239:240], v[241:242]
	;; [unrolled: 1-line block ×3, first 2 shown]
	v_fma_f64 v[161:162], v[56:57], s[18:19], v[199:200]
	v_fma_f64 v[199:200], v[56:57], s[38:39], v[199:200]
	v_add_f64_e32 v[169:170], v[169:170], v[171:172]
	v_fma_f64 v[171:172], v[56:57], s[44:45], v[207:208]
	v_fma_f64 v[207:208], v[56:57], s[24:25], v[207:208]
	v_add_f64_e32 v[96:97], v[96:97], v[139:140]
	v_mul_f64_e32 v[151:152], s[36:37], v[94:95]
	v_mul_f64_e32 v[241:242], s[42:43], v[94:95]
	;; [unrolled: 1-line block ×3, first 2 shown]
	v_fma_f64 v[251:252], v[62:63], s[28:29], v[203:204]
	v_fma_f64 v[203:204], v[62:63], s[28:29], -v[203:204]
	v_fma_f64 v[139:140], v[60:61], s[42:43], v[215:216]
	v_add_f64_e64 v[72:73], v[193:194], -v[72:73]
	v_add_f64_e32 v[34:35], v[34:35], v[38:39]
	v_add_f64_e32 v[32:33], v[32:33], v[36:37]
	v_fma_f64 v[36:37], v[80:81], s[16:17], v[185:186]
	v_fma_f64 v[38:39], v[82:83], s[18:19], v[181:182]
	v_fma_f64 v[181:182], v[80:81], s[16:17], -v[185:186]
	v_fma_f64 v[185:186], v[82:83], s[40:41], v[120:121]
	v_fma_f64 v[82:83], v[82:83], s[14:15], v[120:121]
	;; [unrolled: 1-line block ×3, first 2 shown]
	v_fma_f64 v[80:81], v[80:81], s[10:11], -v[118:119]
	v_fma_f64 v[118:119], v[102:103], s[24:25], v[177:178]
	v_fma_f64 v[177:178], v[90:91], s[30:31], v[179:180]
	;; [unrolled: 1-line block ×8, first 2 shown]
	v_mul_f64_e32 v[122:123], s[36:37], v[100:101]
	v_mul_f64_e32 v[100:101], s[44:45], v[100:101]
	v_fma_f64 v[131:132], v[70:71], s[6:7], v[114:115]
	v_fma_f64 v[114:115], v[70:71], s[6:7], -v[114:115]
	v_add_f64_e32 v[30:31], v[30:31], v[34:35]
	v_fma_f64 v[34:35], v[70:71], s[22:23], v[88:89]
	v_add_f64_e32 v[36:37], v[20:21], v[36:37]
	v_add_f64_e32 v[38:39], v[22:23], v[38:39]
	;; [unrolled: 1-line block ×8, first 2 shown]
	v_fma_f64 v[48:49], v[70:71], s[16:17], v[116:117]
	v_fma_f64 v[116:117], v[70:71], s[16:17], -v[116:117]
	v_add_f64_e32 v[22:23], v[22:23], v[50:51]
	v_fma_f64 v[50:51], v[76:77], s[22:23], v[165:166]
	v_fma_f64 v[165:166], v[76:77], s[22:23], -v[165:166]
	v_add_f64_e32 v[28:29], v[28:29], v[32:33]
	v_fma_f64 v[70:71], v[70:71], s[22:23], -v[88:89]
	v_fma_f64 v[32:33], v[76:77], s[6:7], v[122:123]
	v_fma_f64 v[122:123], v[76:77], s[6:7], -v[122:123]
	v_fma_f64 v[88:89], v[76:77], s[28:29], v[100:101]
	v_fma_f64 v[76:77], v[76:77], s[28:29], -v[100:101]
	v_mul_f64_e32 v[100:101], s[42:43], v[86:87]
	v_mul_f64_e32 v[86:87], s[34:35], v[86:87]
	v_add_f64_e32 v[131:132], v[131:132], v[233:234]
	v_add_f64_e32 v[114:115], v[114:115], v[153:154]
	v_mul_f64_e32 v[233:234], s[38:39], v[104:105]
	v_mul_f64_e32 v[153:154], s[40:41], v[104:105]
	;; [unrolled: 1-line block ×3, first 2 shown]
	v_add_f64_e32 v[26:27], v[26:27], v[30:31]
	v_add_f64_e32 v[34:35], v[34:35], v[253:254]
	;; [unrolled: 1-line block ×3, first 2 shown]
	v_fma_f64 v[141:142], v[64:65], s[10:11], v[143:144]
	v_add_f64_e32 v[181:182], v[183:184], v[181:182]
	v_add_f64_e32 v[124:125], v[124:125], v[185:186]
	v_add_f64_e32 v[82:83], v[90:91], v[82:83]
	v_fma_f64 v[143:144], v[64:65], s[10:11], -v[143:144]
	v_add_f64_e32 v[80:81], v[189:190], v[80:81]
	v_fma_f64 v[183:184], v[64:65], s[6:7], v[231:232]
	v_add_f64_e32 v[48:49], v[48:49], v[243:244]
	v_add_f64_e32 v[116:117], v[116:117], v[163:164]
	v_fma_f64 v[243:244], v[64:65], s[16:17], v[191:192]
	v_fma_f64 v[191:192], v[64:65], s[16:17], -v[191:192]
	v_fma_f64 v[185:186], v[64:65], s[6:7], -v[231:232]
	v_add_f64_e32 v[78:79], v[78:79], v[120:121]
	v_add_f64_e32 v[70:71], v[70:71], v[173:174]
	;; [unrolled: 1-line block ×3, first 2 shown]
	v_fma_f64 v[52:53], v[56:57], s[14:15], v[213:214]
	v_fma_f64 v[120:121], v[56:57], s[40:41], v[213:214]
	v_add_f64_e32 v[38:39], v[177:178], v[38:39]
	v_fma_f64 v[173:174], v[64:65], s[26:27], v[100:101]
	v_fma_f64 v[100:101], v[64:65], s[26:27], -v[100:101]
	v_fma_f64 v[189:190], v[64:65], s[22:23], v[86:87]
	v_fma_f64 v[64:65], v[64:65], s[22:23], -v[86:87]
	v_add_f64_e32 v[24:25], v[24:25], v[28:29]
	v_add_f64_e32 v[22:23], v[54:55], v[22:23]
	;; [unrolled: 1-line block ×8, first 2 shown]
	v_fma_f64 v[163:164], v[60:61], s[44:45], v[201:202]
	v_fma_f64 v[201:202], v[60:61], s[24:25], v[201:202]
	;; [unrolled: 1-line block ×5, first 2 shown]
	v_add_f64_e32 v[18:19], v[18:19], v[26:27]
	v_add_f64_e32 v[32:33], v[32:33], v[34:35]
	;; [unrolled: 1-line block ×7, first 2 shown]
	v_fma_f64 v[26:27], v[62:63], s[10:11], v[223:224]
	v_add_f64_e32 v[80:81], v[187:188], v[80:81]
	v_fma_f64 v[96:97], v[62:63], s[10:11], -v[223:224]
	v_add_f64_e32 v[48:49], v[84:85], v[48:49]
	v_add_f64_e32 v[44:45], v[44:45], v[116:117]
	;; [unrolled: 1-line block ×4, first 2 shown]
	v_fma_f64 v[102:103], v[62:63], s[6:7], -v[151:152]
	v_add_f64_e32 v[78:79], v[129:130], v[78:79]
	v_add_f64_e32 v[70:71], v[122:123], v[70:71]
	v_add_f64_e32 v[20:21], v[98:99], v[20:21]
	v_fma_f64 v[98:99], v[60:61], s[18:19], v[42:43]
	v_fma_f64 v[42:43], v[60:61], s[38:39], v[42:43]
	v_add_f64_e32 v[38:39], v[92:93], v[38:39]
	v_fma_f64 v[92:93], v[60:61], s[14:15], v[219:220]
	v_fma_f64 v[118:119], v[62:63], s[26:27], -v[241:242]
	v_fma_f64 v[122:123], v[62:63], s[16:17], v[94:95]
	v_fma_f64 v[90:91], v[58:59], s[28:29], v[211:212]
	v_add_f64_e32 v[16:17], v[16:17], v[24:25]
	v_add_f64_e32 v[22:23], v[108:109], v[22:23]
	v_fma_f64 v[24:25], v[60:61], s[40:41], v[219:220]
	v_add_f64_e32 v[60:61], v[74:75], v[195:196]
	v_fma_f64 v[74:75], v[62:63], s[6:7], v[151:152]
	v_fma_f64 v[108:109], v[62:63], s[26:27], v[241:242]
	v_fma_f64 v[62:63], v[62:63], s[16:17], -v[94:95]
	v_add_f64_e32 v[114:115], v[143:144], v[114:115]
	v_add_f64_e32 v[46:47], v[46:47], v[149:150]
	;; [unrolled: 1-line block ×8, first 2 shown]
	v_mov_b32_e32 v243, v135
	v_mov_b32_e32 v135, v137
	v_add_f64_e32 v[76:77], v[185:186], v[76:77]
	v_add_f64_e32 v[34:35], v[133:134], v[34:35]
	;; [unrolled: 1-line block ×3, first 2 shown]
	v_fma_f64 v[110:111], v[56:57], s[20:21], v[217:218]
	v_add_f64_e32 v[64:65], v[64:65], v[80:81]
	v_add_f64_e32 v[80:81], v[179:180], v[88:89]
	v_fma_f64 v[88:89], v[56:57], s[34:35], v[217:218]
	v_add_f64_e32 v[44:45], v[100:101], v[44:45]
	v_add_f64_e32 v[100:101], v[66:67], v[116:117]
	v_fma_f64 v[116:117], v[56:57], s[0:1], v[40:41]
	v_fma_f64 v[40:41], v[56:57], s[36:37], v[40:41]
	v_add_f64_e32 v[56:57], v[2:3], v[205:206]
	v_add_f64_e64 v[66:67], v[197:198], -v[0:1]
	scratch_load_b128 v[0:3], off, off      ; 16-byte Folded Reload
	v_add_f64_e32 v[84:85], v[155:156], v[84:85]
	v_add_f64_e32 v[70:71], v[191:192], v[70:71]
	;; [unrolled: 1-line block ×6, first 2 shown]
	v_fma_f64 v[30:31], v[58:59], s[28:29], -v[211:212]
	v_add_f64_e32 v[12:13], v[12:13], v[16:17]
	v_add_f64_e32 v[22:23], v[112:113], v[22:23]
	;; [unrolled: 1-line block ×3, first 2 shown]
	v_dual_mov_b32 v137, v128 :: v_dual_mov_b32 v128, v246
	v_mov_b32_e32 v246, v136
	v_mov_b32_e32 v136, v68
	v_fma_f64 v[106:107], v[58:59], s[22:23], v[221:222]
	v_fma_f64 v[112:113], v[58:59], s[22:23], -v[221:222]
	v_fma_f64 v[18:19], v[58:59], s[16:17], v[233:234]
	v_fma_f64 v[20:21], v[58:59], s[16:17], -v[233:234]
	;; [unrolled: 2-line block ×4, first 2 shown]
	v_add_f64_e32 v[104:105], v[203:204], v[114:115]
	v_add_f64_e32 v[46:47], v[139:140], v[46:47]
	;; [unrolled: 1-line block ×35, first 2 shown]
	v_and_b32_e32 v52, 0xffff, v128
	v_add_f64_e32 v[22:23], v[207:208], v[28:29]
	v_add_f64_e32 v[28:29], v[126:127], v[70:71]
	;; [unrolled: 1-line block ×13, first 2 shown]
	v_add_lshl_u32 v52, v137, v52, 4
	ds_store_b128 v52, v[36:39] offset:32
	ds_store_b128 v52, v[32:35] offset:48
	;; [unrolled: 1-line block ×10, first 2 shown]
	ds_store_b128 v52, v[4:7]
	ds_store_b128 v52, v[48:51] offset:16
	s_wait_loadcnt 0x0
	ds_store_b128 v52, v[0:3] offset:192
.LBB0_7:
	s_or_b32 exec_lo, exec_lo, s33
	v_add_co_u32 v40, null, v136, 26
	v_add_nc_u16 v4, v136, 52
	v_cmp_gt_u16_e64 s0, 13, v136
	s_load_b128 s[4:7], s[4:5], 0x0
	s_delay_alu instid0(VALU_DEP_3)
	v_and_b32_e32 v5, 0xff, v40
	global_wb scope:SCOPE_SE
	s_wait_storecnt_dscnt 0x0
	v_and_b32_e32 v6, 0xff, v4
	s_wait_kmcnt 0x0
	s_barrier_signal -1
	s_barrier_wait -1
	v_mul_lo_u16 v5, 0x4f, v5
	global_inv scope:SCOPE_SE
	v_mul_lo_u16 v6, 0x4f, v6
	v_add_lshl_u32 v141, v137, v136, 4
	v_lshlrev_b32_e32 v153, 5, v136
	v_lshrrev_b16 v117, 10, v5
	v_add_nc_u32_e32 v5, -13, v136
	v_lshrrev_b16 v118, 10, v6
	s_mov_b32 s11, 0xbfebb67a
	s_delay_alu instid0(VALU_DEP_3) | instskip(NEXT) | instid1(VALU_DEP_3)
	v_mul_lo_u16 v6, v117, 13
	v_cndmask_b32_e64 v119, v5, v136, s0
	s_delay_alu instid0(VALU_DEP_3) | instskip(NEXT) | instid1(VALU_DEP_3)
	v_mul_lo_u16 v5, v118, 13
	v_sub_nc_u16 v6, v40, v6
	s_delay_alu instid0(VALU_DEP_3) | instskip(SKIP_1) | instid1(VALU_DEP_4)
	v_mul_i32_i24_e32 v7, 48, v119
	v_mul_hi_i32_i24_e32 v8, 48, v119
	v_sub_nc_u16 v9, v4, v5
	s_delay_alu instid0(VALU_DEP_4) | instskip(NEXT) | instid1(VALU_DEP_4)
	v_and_b32_e32 v120, 0xff, v6
	v_add_co_u32 v4, s0, s2, v7
	s_wait_alu 0xf1ff
	v_add_co_ci_u32_e64 v5, s0, s3, v8, s0
	v_and_b32_e32 v121, 0xff, v9
	v_mad_co_u64_u32 v[6:7], null, v120, 48, s[2:3]
	s_clause 0x1
	global_load_b128 v[24:27], v[4:5], off
	global_load_b128 v[20:23], v[4:5], off offset:16
	v_cmp_lt_u16_e64 s0, 12, v136
	v_mad_co_u64_u32 v[28:29], null, v121, 48, s[2:3]
	s_clause 0x6
	global_load_b128 v[16:19], v[4:5], off offset:32
	global_load_b128 v[12:15], v[6:7], off
	global_load_b128 v[8:11], v[6:7], off offset:16
	global_load_b128 v[4:7], v[6:7], off offset:32
	global_load_b128 v[36:39], v[28:29], off
	global_load_b128 v[32:35], v[28:29], off offset:16
	global_load_b128 v[28:31], v[28:29], off offset:32
	ds_load_b128 v[41:44], v141 offset:1248
	ds_load_b128 v[45:48], v141 offset:2496
	;; [unrolled: 1-line block ×10, first 2 shown]
	s_wait_loadcnt_dscnt 0x809
	v_mul_f64_e32 v[81:82], v[43:44], v[26:27]
	v_mul_f64_e32 v[83:84], v[41:42], v[26:27]
	s_wait_loadcnt_dscnt 0x708
	v_mul_f64_e32 v[85:86], v[47:48], v[22:23]
	v_mul_f64_e32 v[87:88], v[45:46], v[22:23]
	;; [unrolled: 3-line block ×9, first 2 shown]
	v_fma_f64 v[81:82], v[41:42], v[24:25], -v[81:82]
	v_fma_f64 v[83:84], v[43:44], v[24:25], v[83:84]
	v_fma_f64 v[85:86], v[45:46], v[20:21], -v[85:86]
	v_fma_f64 v[87:88], v[47:48], v[20:21], v[87:88]
	;; [unrolled: 2-line block ×9, first 2 shown]
	ds_load_b128 v[41:44], v141
	ds_load_b128 v[45:48], v141 offset:416
	global_wb scope:SCOPE_SE
	s_wait_dscnt 0x0
	s_barrier_signal -1
	s_barrier_wait -1
	global_inv scope:SCOPE_SE
	v_add_f64_e64 v[85:86], v[41:42], -v[85:86]
	v_add_f64_e64 v[87:88], v[43:44], -v[87:88]
	;; [unrolled: 1-line block ×12, first 2 shown]
	v_fma_f64 v[71:72], v[41:42], 2.0, -v[85:86]
	v_fma_f64 v[75:76], v[43:44], 2.0, -v[87:88]
	;; [unrolled: 1-line block ×4, first 2 shown]
	v_add_f64_e64 v[41:42], v[85:86], -v[51:52]
	v_add_f64_e32 v[43:44], v[87:88], v[49:50]
	v_fma_f64 v[81:82], v[45:46], 2.0, -v[89:90]
	v_fma_f64 v[83:84], v[47:48], 2.0, -v[91:92]
	;; [unrolled: 1-line block ×4, first 2 shown]
	v_add_f64_e64 v[45:46], v[89:90], -v[59:60]
	v_add_f64_e32 v[47:48], v[91:92], v[57:58]
	v_fma_f64 v[99:100], v[77:78], 2.0, -v[93:94]
	v_fma_f64 v[79:80], v[79:80], 2.0, -v[95:96]
	;; [unrolled: 1-line block ×4, first 2 shown]
	v_add_f64_e64 v[53:54], v[93:94], -v[61:62]
	v_add_f64_e64 v[49:50], v[71:72], -v[63:64]
	;; [unrolled: 1-line block ×5, first 2 shown]
	v_add_f64_e32 v[55:56], v[95:96], v[69:70]
	v_fma_f64 v[69:70], v[89:90], 2.0, -v[45:46]
	v_and_b32_e32 v89, 0xffff, v117
	v_and_b32_e32 v90, 0xffff, v118
	v_add_f64_e64 v[61:62], v[99:100], -v[65:66]
	v_add_f64_e64 v[63:64], v[79:80], -v[67:68]
	v_fma_f64 v[65:66], v[85:86], 2.0, -v[41:42]
	v_fma_f64 v[67:68], v[87:88], 2.0, -v[43:44]
	;; [unrolled: 1-line block ×3, first 2 shown]
	v_mul_u32_u24_e32 v89, 52, v89
	v_mul_u32_u24_e32 v90, 52, v90
	s_delay_alu instid0(VALU_DEP_2) | instskip(NEXT) | instid1(VALU_DEP_2)
	v_add_nc_u32_e32 v89, v89, v120
	v_add_nc_u32_e32 v90, v90, v121
	s_delay_alu instid0(VALU_DEP_2) | instskip(NEXT) | instid1(VALU_DEP_2)
	v_add_lshl_u32 v145, v137, v89, 4
	v_add_lshl_u32 v144, v137, v90, 4
	v_fma_f64 v[73:74], v[71:72], 2.0, -v[49:50]
	v_fma_f64 v[75:76], v[75:76], 2.0, -v[51:52]
	;; [unrolled: 1-line block ×3, first 2 shown]
	s_wait_alu 0xf1ff
	v_cndmask_b32_e64 v91, 0, 52, s0
	v_lshlrev_b32_e32 v92, 5, v40
	s_mov_b32 s0, 0xe8584caa
	v_fma_f64 v[81:82], v[81:82], 2.0, -v[57:58]
	v_fma_f64 v[83:84], v[83:84], 2.0, -v[59:60]
	v_add_nc_u32_e32 v91, v119, v91
	s_mov_b32 s1, 0x3febb67a
	s_wait_alu 0xfffe
	s_mov_b32 s10, s0
	v_fma_f64 v[85:86], v[99:100], 2.0, -v[61:62]
	v_fma_f64 v[87:88], v[79:80], 2.0, -v[63:64]
	;; [unrolled: 1-line block ×3, first 2 shown]
	v_add_lshl_u32 v146, v137, v91, 4
	ds_store_b128 v146, v[49:52] offset:416
	ds_store_b128 v146, v[41:44] offset:624
	ds_store_b128 v146, v[73:76]
	ds_store_b128 v146, v[65:68] offset:208
	ds_store_b128 v145, v[57:60] offset:416
	;; [unrolled: 1-line block ×3, first 2 shown]
	ds_store_b128 v145, v[81:84]
	ds_store_b128 v145, v[69:72] offset:208
	ds_store_b128 v144, v[85:88]
	ds_store_b128 v144, v[77:80] offset:208
	ds_store_b128 v144, v[61:64] offset:416
	ds_store_b128 v144, v[53:56] offset:624
	global_wb scope:SCOPE_SE
	s_wait_dscnt 0x0
	s_barrier_signal -1
	s_barrier_wait -1
	global_inv scope:SCOPE_SE
	s_clause 0x3
	global_load_b128 v[44:47], v153, s[2:3] offset:624
	global_load_b128 v[40:43], v153, s[2:3] offset:640
	global_load_b128 v[52:55], v92, s[2:3] offset:624
	global_load_b128 v[48:51], v92, s[2:3] offset:640
	ds_load_b128 v[56:59], v141 offset:1664
	ds_load_b128 v[60:63], v141 offset:3328
	ds_load_b128 v[64:67], v141 offset:2080
	ds_load_b128 v[68:71], v141 offset:3744
	ds_load_b128 v[72:75], v141 offset:2496
	ds_load_b128 v[76:79], v141 offset:4160
	ds_load_b128 v[80:83], v141 offset:2912
	ds_load_b128 v[84:87], v141 offset:4576
	s_wait_loadcnt_dscnt 0x307
	v_mul_f64_e32 v[88:89], v[58:59], v[46:47]
	v_mul_f64_e32 v[90:91], v[56:57], v[46:47]
	s_wait_loadcnt_dscnt 0x206
	v_mul_f64_e32 v[92:93], v[62:63], v[42:43]
	v_mul_f64_e32 v[94:95], v[60:61], v[42:43]
	;; [unrolled: 3-line block ×4, first 2 shown]
	s_wait_dscnt 0x3
	v_mul_f64_e32 v[104:105], v[74:75], v[46:47]
	s_wait_dscnt 0x2
	v_mul_f64_e32 v[106:107], v[78:79], v[42:43]
	v_mul_f64_e32 v[108:109], v[72:73], v[46:47]
	;; [unrolled: 1-line block ×3, first 2 shown]
	s_wait_dscnt 0x1
	v_mul_f64_e32 v[112:113], v[82:83], v[54:55]
	v_mul_f64_e32 v[114:115], v[80:81], v[54:55]
	s_wait_dscnt 0x0
	v_mul_f64_e32 v[116:117], v[86:87], v[50:51]
	v_mul_f64_e32 v[118:119], v[84:85], v[50:51]
	v_fma_f64 v[88:89], v[56:57], v[44:45], -v[88:89]
	v_fma_f64 v[90:91], v[58:59], v[44:45], v[90:91]
	v_fma_f64 v[92:93], v[60:61], v[40:41], -v[92:93]
	v_fma_f64 v[94:95], v[62:63], v[40:41], v[94:95]
	v_fma_f64 v[96:97], v[64:65], v[52:53], -v[96:97]
	v_fma_f64 v[98:99], v[66:67], v[52:53], v[98:99]
	v_fma_f64 v[100:101], v[68:69], v[48:49], -v[100:101]
	v_fma_f64 v[102:103], v[70:71], v[48:49], v[102:103]
	v_fma_f64 v[72:73], v[72:73], v[44:45], -v[104:105]
	v_fma_f64 v[76:77], v[76:77], v[40:41], -v[106:107]
	v_fma_f64 v[74:75], v[74:75], v[44:45], v[108:109]
	v_fma_f64 v[78:79], v[78:79], v[40:41], v[110:111]
	v_fma_f64 v[80:81], v[80:81], v[52:53], -v[112:113]
	v_fma_f64 v[82:83], v[82:83], v[52:53], v[114:115]
	v_fma_f64 v[84:85], v[84:85], v[48:49], -v[116:117]
	v_fma_f64 v[86:87], v[86:87], v[48:49], v[118:119]
	ds_load_b128 v[56:59], v141
	ds_load_b128 v[60:63], v141 offset:416
	ds_load_b128 v[64:67], v141 offset:832
	;; [unrolled: 1-line block ×3, first 2 shown]
	global_wb scope:SCOPE_SE
	s_wait_dscnt 0x0
	s_barrier_signal -1
	s_barrier_wait -1
	global_inv scope:SCOPE_SE
	v_add_f64_e32 v[120:121], v[56:57], v[88:89]
	v_add_f64_e32 v[104:105], v[88:89], v[92:93]
	;; [unrolled: 1-line block ×3, first 2 shown]
	v_add_f64_e64 v[122:123], v[90:91], -v[94:95]
	v_add_f64_e32 v[90:91], v[58:59], v[90:91]
	v_add_f64_e32 v[108:109], v[96:97], v[100:101]
	;; [unrolled: 1-line block ×13, first 2 shown]
	v_add_f64_e64 v[88:89], v[88:89], -v[92:93]
	v_add_f64_e64 v[98:99], v[98:99], -v[102:103]
	;; [unrolled: 1-line block ×7, first 2 shown]
	v_fma_f64 v[104:105], v[104:105], -0.5, v[56:57]
	v_fma_f64 v[106:107], v[106:107], -0.5, v[58:59]
	v_add_f64_e32 v[56:57], v[120:121], v[92:93]
	v_add_f64_e32 v[58:59], v[90:91], v[94:95]
	v_fma_f64 v[108:109], v[108:109], -0.5, v[60:61]
	v_fma_f64 v[110:111], v[110:111], -0.5, v[62:63]
	v_add_f64_e32 v[60:61], v[124:125], v[100:101]
	v_fma_f64 v[112:113], v[112:113], -0.5, v[64:65]
	v_add_f64_e32 v[62:63], v[126:127], v[102:103]
	;; [unrolled: 2-line block ×3, first 2 shown]
	v_add_f64_e32 v[66:67], v[131:132], v[78:79]
	v_fma_f64 v[116:117], v[116:117], -0.5, v[68:69]
	v_fma_f64 v[118:119], v[118:119], -0.5, v[70:71]
	v_add_f64_e32 v[68:69], v[133:134], v[84:85]
	v_add_f64_e32 v[70:71], v[139:140], v[86:87]
	v_fma_f64 v[72:73], v[122:123], s[0:1], v[104:105]
	s_wait_alu 0xfffe
	v_fma_f64 v[74:75], v[88:89], s[10:11], v[106:107]
	v_fma_f64 v[76:77], v[122:123], s[10:11], v[104:105]
	;; [unrolled: 1-line block ×15, first 2 shown]
	v_lshlrev_b32_e32 v142, 4, v136
	v_add_co_u32 v104, s0, s2, v153
	s_wait_alu 0xf1ff
	v_add_co_ci_u32_e64 v105, null, s3, 0, s0
	ds_store_b128 v141, v[56:59]
	ds_store_b128 v141, v[60:63] offset:416
	ds_store_b128 v141, v[64:67] offset:2496
	;; [unrolled: 1-line block ×11, first 2 shown]
	v_sub_co_u32 v104, s0, v104, v142
	s_wait_alu 0xf1ff
	v_subrev_co_ci_u32_e64 v105, s0, 0, v105, s0
	global_wb scope:SCOPE_SE
	s_wait_dscnt 0x0
	s_barrier_signal -1
	s_barrier_wait -1
	global_inv scope:SCOPE_SE
	s_clause 0x5
	global_load_b128 v[56:59], v[104:105], off offset:2288
	global_load_b128 v[60:63], v[104:105], off offset:2704
	;; [unrolled: 1-line block ×6, first 2 shown]
	ds_load_b128 v[80:83], v141 offset:2496
	ds_load_b128 v[84:87], v141 offset:2912
	;; [unrolled: 1-line block ×6, first 2 shown]
	v_lshl_add_u32 v143, v136, 4, v246
	s_wait_loadcnt_dscnt 0x505
	v_mul_f64_e32 v[104:105], v[82:83], v[58:59]
	v_mul_f64_e32 v[106:107], v[80:81], v[58:59]
	s_wait_loadcnt_dscnt 0x404
	v_mul_f64_e32 v[108:109], v[86:87], v[62:63]
	v_mul_f64_e32 v[110:111], v[84:85], v[62:63]
	;; [unrolled: 3-line block ×6, first 2 shown]
	v_fma_f64 v[104:105], v[80:81], v[56:57], -v[104:105]
	v_fma_f64 v[106:107], v[82:83], v[56:57], v[106:107]
	v_fma_f64 v[108:109], v[84:85], v[60:61], -v[108:109]
	v_fma_f64 v[110:111], v[86:87], v[60:61], v[110:111]
	;; [unrolled: 2-line block ×6, first 2 shown]
	ds_load_b128 v[80:83], v141
	ds_load_b128 v[92:95], v141 offset:416
	ds_load_b128 v[100:103], v141 offset:832
	;; [unrolled: 1-line block ×5, first 2 shown]
	s_wait_dscnt 0x5
	v_add_f64_e64 v[84:85], v[80:81], -v[104:105]
	v_add_f64_e64 v[86:87], v[82:83], -v[106:107]
	s_wait_dscnt 0x4
	v_add_f64_e64 v[88:89], v[92:93], -v[108:109]
	v_add_f64_e64 v[90:91], v[94:95], -v[110:111]
	;; [unrolled: 3-line block ×6, first 2 shown]
	v_fma_f64 v[80:81], v[80:81], 2.0, -v[84:85]
	v_fma_f64 v[82:83], v[82:83], 2.0, -v[86:87]
	;; [unrolled: 1-line block ×12, first 2 shown]
	v_add_nc_u32_e32 v129, v142, v246
	ds_store_b128 v143, v[88:91] offset:2912
	ds_store_b128 v143, v[112:115] offset:3328
	;; [unrolled: 1-line block ×3, first 2 shown]
	ds_store_b128 v143, v[80:83]
	ds_store_b128 v143, v[92:95] offset:416
	ds_store_b128 v143, v[108:111] offset:832
	;; [unrolled: 1-line block ×8, first 2 shown]
	global_wb scope:SCOPE_SE
	s_wait_dscnt 0x0
	s_barrier_signal -1
	s_barrier_wait -1
	global_inv scope:SCOPE_SE
	s_and_saveexec_b32 s2, vcc_lo
	s_cbranch_execz .LBB0_9
; %bb.8:
	global_load_b128 v[147:150], v138, s[12:13] offset:4992
	s_add_nc_u64 s[0:1], s[12:13], 0x1380
	s_clause 0x3
	global_load_b128 v[151:154], v138, s[0:1] offset:384
	global_load_b128 v[155:158], v138, s[0:1] offset:768
	;; [unrolled: 1-line block ×4, first 2 shown]
	ds_load_b128 v[167:170], v143
	ds_load_b128 v[171:174], v143 offset:384
	ds_load_b128 v[175:178], v143 offset:768
	global_load_b128 v[179:182], v138, s[0:1] offset:1920
	s_wait_loadcnt_dscnt 0x401
	v_mul_f64_e32 v[139:140], v[173:174], v[153:154]
	v_mul_f64_e32 v[130:131], v[169:170], v[149:150]
	;; [unrolled: 1-line block ×4, first 2 shown]
	s_delay_alu instid0(VALU_DEP_4) | instskip(NEXT) | instid1(VALU_DEP_4)
	v_fma_f64 v[171:172], v[171:172], v[151:152], -v[139:140]
	v_fma_f64 v[167:168], v[167:168], v[147:148], -v[130:131]
	s_delay_alu instid0(VALU_DEP_4)
	v_fma_f64 v[169:170], v[169:170], v[147:148], v[132:133]
	ds_load_b128 v[147:150], v143 offset:1152
	s_wait_loadcnt_dscnt 0x301
	v_mul_f64_e32 v[130:131], v[177:178], v[157:158]
	v_mul_f64_e32 v[132:133], v[175:176], v[157:158]
	v_fma_f64 v[173:174], v[173:174], v[151:152], v[153:154]
	s_wait_loadcnt_dscnt 0x200
	v_mul_f64_e32 v[139:140], v[149:150], v[161:162]
	v_mul_f64_e32 v[161:162], v[147:148], v[161:162]
	v_fma_f64 v[151:152], v[175:176], v[155:156], -v[130:131]
	v_fma_f64 v[153:154], v[177:178], v[155:156], v[132:133]
	ds_load_b128 v[155:158], v143 offset:1536
	ds_load_b128 v[175:178], v143 offset:1920
	v_fma_f64 v[147:148], v[147:148], v[159:160], -v[139:140]
	v_fma_f64 v[149:150], v[149:150], v[159:160], v[161:162]
	s_wait_loadcnt_dscnt 0x101
	v_mul_f64_e32 v[130:131], v[157:158], v[165:166]
	global_load_b128 v[159:162], v138, s[0:1] offset:2304
	v_mul_f64_e32 v[132:133], v[155:156], v[165:166]
	v_fma_f64 v[155:156], v[155:156], v[163:164], -v[130:131]
	s_wait_loadcnt_dscnt 0x100
	v_mul_f64_e32 v[130:131], v[177:178], v[181:182]
	s_delay_alu instid0(VALU_DEP_3) | instskip(SKIP_3) | instid1(VALU_DEP_2)
	v_fma_f64 v[157:158], v[157:158], v[163:164], v[132:133]
	global_load_b128 v[163:166], v138, s[0:1] offset:2688
	v_mul_f64_e32 v[132:133], v[175:176], v[181:182]
	v_fma_f64 v[175:176], v[175:176], v[179:180], -v[130:131]
	v_fma_f64 v[177:178], v[177:178], v[179:180], v[132:133]
	ds_load_b128 v[179:182], v143 offset:2304
	ds_load_b128 v[183:186], v143 offset:2688
	s_wait_loadcnt_dscnt 0x101
	v_mul_f64_e32 v[130:131], v[181:182], v[161:162]
	v_mul_f64_e32 v[132:133], v[179:180], v[161:162]
	s_delay_alu instid0(VALU_DEP_2) | instskip(NEXT) | instid1(VALU_DEP_2)
	v_fma_f64 v[179:180], v[179:180], v[159:160], -v[130:131]
	v_fma_f64 v[181:182], v[181:182], v[159:160], v[132:133]
	s_wait_loadcnt_dscnt 0x0
	v_mul_f64_e32 v[130:131], v[185:186], v[165:166]
	v_mul_f64_e32 v[132:133], v[183:184], v[165:166]
	s_delay_alu instid0(VALU_DEP_2) | instskip(NEXT) | instid1(VALU_DEP_2)
	v_fma_f64 v[159:160], v[183:184], v[163:164], -v[130:131]
	v_fma_f64 v[161:162], v[185:186], v[163:164], v[132:133]
	s_clause 0x1
	global_load_b128 v[163:166], v138, s[0:1] offset:3072
	global_load_b128 v[183:186], v138, s[0:1] offset:3456
	ds_load_b128 v[187:190], v143 offset:3072
	ds_load_b128 v[191:194], v143 offset:3456
	s_wait_loadcnt_dscnt 0x101
	v_mul_f64_e32 v[130:131], v[189:190], v[165:166]
	v_mul_f64_e32 v[132:133], v[187:188], v[165:166]
	s_delay_alu instid0(VALU_DEP_2) | instskip(NEXT) | instid1(VALU_DEP_2)
	v_fma_f64 v[187:188], v[187:188], v[163:164], -v[130:131]
	v_fma_f64 v[189:190], v[189:190], v[163:164], v[132:133]
	s_wait_loadcnt_dscnt 0x0
	v_mul_f64_e32 v[130:131], v[193:194], v[185:186]
	v_mul_f64_e32 v[132:133], v[191:192], v[185:186]
	s_delay_alu instid0(VALU_DEP_2) | instskip(NEXT) | instid1(VALU_DEP_2)
	v_fma_f64 v[163:164], v[191:192], v[183:184], -v[130:131]
	v_fma_f64 v[165:166], v[193:194], v[183:184], v[132:133]
	s_clause 0x1
	global_load_b128 v[183:186], v138, s[0:1] offset:3840
	global_load_b128 v[191:194], v138, s[0:1] offset:4224
	ds_load_b128 v[195:198], v143 offset:3840
	ds_load_b128 v[199:202], v143 offset:4224
	s_wait_loadcnt_dscnt 0x101
	v_mul_f64_e32 v[130:131], v[197:198], v[185:186]
	v_mul_f64_e32 v[132:133], v[195:196], v[185:186]
	s_delay_alu instid0(VALU_DEP_2) | instskip(NEXT) | instid1(VALU_DEP_2)
	v_fma_f64 v[195:196], v[195:196], v[183:184], -v[130:131]
	v_fma_f64 v[197:198], v[197:198], v[183:184], v[132:133]
	s_wait_loadcnt_dscnt 0x0
	v_mul_f64_e32 v[130:131], v[201:202], v[193:194]
	v_mul_f64_e32 v[132:133], v[199:200], v[193:194]
	s_delay_alu instid0(VALU_DEP_2) | instskip(NEXT) | instid1(VALU_DEP_2)
	v_fma_f64 v[183:184], v[199:200], v[191:192], -v[130:131]
	v_fma_f64 v[185:186], v[201:202], v[191:192], v[132:133]
	global_load_b128 v[191:194], v138, s[0:1] offset:4608
	ds_load_b128 v[199:202], v143 offset:4608
	s_wait_loadcnt_dscnt 0x0
	v_mul_f64_e32 v[130:131], v[201:202], v[193:194]
	v_mul_f64_e32 v[132:133], v[199:200], v[193:194]
	s_delay_alu instid0(VALU_DEP_2) | instskip(NEXT) | instid1(VALU_DEP_2)
	v_fma_f64 v[199:200], v[199:200], v[191:192], -v[130:131]
	v_fma_f64 v[201:202], v[201:202], v[191:192], v[132:133]
	ds_store_b128 v143, v[167:170]
	ds_store_b128 v143, v[171:174] offset:384
	ds_store_b128 v143, v[151:154] offset:768
	;; [unrolled: 1-line block ×12, first 2 shown]
.LBB0_9:
	s_wait_alu 0xfffe
	s_or_b32 exec_lo, exec_lo, s2
	global_wb scope:SCOPE_SE
	s_wait_dscnt 0x0
	s_barrier_signal -1
	s_barrier_wait -1
	global_inv scope:SCOPE_SE
	s_and_saveexec_b32 s0, vcc_lo
	s_cbranch_execz .LBB0_11
; %bb.10:
	ds_load_b128 v[80:83], v143
	ds_load_b128 v[84:87], v143 offset:384
	ds_load_b128 v[92:95], v143 offset:768
	;; [unrolled: 1-line block ×12, first 2 shown]
.LBB0_11:
	s_wait_alu 0xfffe
	s_or_b32 exec_lo, exec_lo, s0
	v_add_nc_u32_e32 v148, 0x680, v129
	v_add_nc_u32_e32 v147, 0x820, v129
	global_wb scope:SCOPE_SE
	s_wait_dscnt 0x0
	s_barrier_signal -1
	s_barrier_wait -1
	global_inv scope:SCOPE_SE
	s_and_saveexec_b32 s33, vcc_lo
	s_cbranch_execz .LBB0_13
; %bb.12:
	v_add_f64_e32 v[129:130], v[82:83], v[86:87]
	v_add_f64_e32 v[131:132], v[80:81], v[84:85]
	v_add_f64_e64 v[161:162], v[90:91], -v[102:103]
	v_add_f64_e32 v[165:166], v[88:89], v[100:101]
	v_add_f64_e64 v[163:164], v[92:93], -v[96:97]
	v_add_f64_e64 v[167:168], v[94:95], -v[98:99]
	v_add_f64_e32 v[171:172], v[96:97], v[92:93]
	s_mov_b32 s37, 0x3fddbe06
	s_mov_b32 s36, 0x4267c47c
	;; [unrolled: 1-line block ×7, first 2 shown]
	v_add_f64_e32 v[169:170], v[98:99], v[94:95]
	s_mov_b32 s31, 0x3fefc445
	s_mov_b32 s11, 0xbfedeba7
	;; [unrolled: 1-line block ×7, first 2 shown]
	s_wait_alu 0xfffe
	s_mov_b32 s26, s34
	s_mov_b32 s24, s30
	;; [unrolled: 1-line block ×16, first 2 shown]
	v_add_f64_e32 v[129:130], v[94:95], v[129:130]
	v_add_f64_e32 v[131:132], v[92:93], v[131:132]
	v_add_f64_e64 v[92:93], v[84:85], -v[0:1]
	v_add_f64_e64 v[94:95], v[86:87], -v[2:3]
	v_add_f64_e32 v[86:87], v[2:3], v[86:87]
	v_add_f64_e32 v[84:85], v[0:1], v[84:85]
	v_mul_f64_e32 v[151:152], s[36:37], v[161:162]
	v_add_f64_e32 v[129:130], v[90:91], v[129:130]
	v_add_f64_e32 v[131:132], v[88:89], v[131:132]
	s_wait_alu 0xfffe
	v_mul_f64_e32 v[173:174], s[26:27], v[92:93]
	v_mul_f64_e32 v[187:188], s[2:3], v[94:95]
	;; [unrolled: 1-line block ×5, first 2 shown]
	v_add_f64_e32 v[129:130], v[110:111], v[129:130]
	v_add_f64_e32 v[131:132], v[108:109], v[131:132]
	v_fma_f64 v[183:184], v[86:87], s[22:23], v[173:174]
	v_fma_f64 v[173:174], v[86:87], s[22:23], -v[173:174]
	v_fma_f64 v[197:198], v[84:85], s[16:17], -v[187:188]
	v_fma_f64 v[187:188], v[84:85], s[16:17], v[187:188]
	v_fma_f64 v[199:200], v[84:85], s[18:19], -v[189:190]
	v_fma_f64 v[189:190], v[84:85], s[18:19], v[189:190]
	v_fma_f64 v[201:202], v[84:85], s[20:21], -v[191:192]
	v_fma_f64 v[191:192], v[84:85], s[20:21], v[191:192]
	v_fma_f64 v[203:204], v[84:85], s[22:23], -v[193:194]
	v_fma_f64 v[193:194], v[84:85], s[22:23], v[193:194]
	v_add_f64_e32 v[129:130], v[114:115], v[129:130]
	v_add_f64_e32 v[131:132], v[112:113], v[131:132]
	;; [unrolled: 1-line block ×10, first 2 shown]
	v_add_f64_e64 v[131:132], v[124:125], -v[116:117]
	v_add_f64_e32 v[124:125], v[116:117], v[124:125]
	v_add_f64_e32 v[129:130], v[118:119], v[126:127]
	v_add_f64_e64 v[126:127], v[126:127], -v[118:119]
	v_add_f64_e32 v[133:134], v[118:119], v[133:134]
	v_add_f64_e32 v[139:140], v[116:117], v[139:140]
	;; [unrolled: 1-line block ×3, first 2 shown]
	v_add_f64_e64 v[114:115], v[114:115], -v[122:123]
	v_add_f64_e64 v[118:119], v[112:113], -v[120:121]
	v_add_f64_e32 v[112:113], v[120:121], v[112:113]
	v_mul_f64_e32 v[157:158], s[36:37], v[131:132]
	v_mul_f64_e32 v[159:160], s[36:37], v[126:127]
	;; [unrolled: 1-line block ×6, first 2 shown]
	v_add_f64_e32 v[122:123], v[122:123], v[133:134]
	v_add_f64_e32 v[133:134], v[120:121], v[139:140]
	v_add_f64_e64 v[139:140], v[108:109], -v[104:105]
	v_add_f64_e32 v[120:121], v[110:111], v[106:107]
	v_add_f64_e64 v[110:111], v[110:111], -v[106:107]
	v_add_f64_e32 v[108:109], v[108:109], v[104:105]
	v_add_f64_e32 v[106:107], v[106:107], v[122:123]
	;; [unrolled: 1-line block ×3, first 2 shown]
	v_add_f64_e64 v[122:123], v[88:89], -v[100:101]
	v_add_f64_e32 v[133:134], v[90:91], v[102:103]
	v_mul_f64_e32 v[153:154], s[36:37], v[139:140]
	v_mul_f64_e32 v[155:156], s[36:37], v[110:111]
	v_add_f64_e32 v[88:89], v[102:103], v[106:107]
	v_add_f64_e32 v[90:91], v[100:101], v[104:105]
	v_mul_f64_e32 v[149:150], s[36:37], v[122:123]
	v_mul_f64_e32 v[100:101], s[0:1], v[92:93]
	v_mul_f64_e32 v[102:103], s[2:3], v[92:93]
	v_mul_f64_e32 v[104:105], s[10:11], v[92:93]
	v_mul_f64_e32 v[106:107], s[24:25], v[92:93]
	v_add_f64_e32 v[88:89], v[98:99], v[88:89]
	v_add_f64_e32 v[90:91], v[96:97], v[90:91]
	v_mul_f64_e32 v[96:97], s[36:37], v[118:119]
	v_mul_f64_e32 v[98:99], s[36:37], v[114:115]
	v_fma_f64 v[175:176], v[86:87], s[14:15], v[100:101]
	v_fma_f64 v[100:101], v[86:87], s[14:15], -v[100:101]
	v_fma_f64 v[177:178], v[86:87], s[16:17], v[102:103]
	v_fma_f64 v[102:103], v[86:87], s[16:17], -v[102:103]
	v_fma_f64 v[179:180], v[86:87], s[18:19], v[104:105]
	v_fma_f64 v[104:105], v[86:87], s[18:19], -v[104:105]
	v_fma_f64 v[181:182], v[86:87], s[20:21], v[106:107]
	v_fma_f64 v[106:107], v[86:87], s[20:21], -v[106:107]
	v_add_f64_e32 v[2:3], v[2:3], v[88:89]
	v_add_f64_e32 v[0:1], v[0:1], v[90:91]
	v_mul_f64_e32 v[88:89], s[36:37], v[163:164]
	v_mul_f64_e32 v[90:91], s[36:37], v[167:168]
	s_mov_b32 s37, 0xbfddbe06
	v_add_f64_e32 v[100:101], v[82:83], v[100:101]
	s_wait_alu 0xfffe
	v_mul_f64_e32 v[92:93], s[36:37], v[92:93]
	v_add_f64_e32 v[177:178], v[82:83], v[177:178]
	v_add_f64_e32 v[102:103], v[82:83], v[102:103]
	;; [unrolled: 1-line block ×4, first 2 shown]
	v_fma_f64 v[185:186], v[86:87], s[28:29], v[92:93]
	v_fma_f64 v[86:87], v[86:87], s[28:29], -v[92:93]
	v_mul_f64_e32 v[92:93], s[0:1], v[94:95]
	v_mul_f64_e32 v[94:95], s[36:37], v[94:95]
	s_mov_b32 s37, 0x3fcea1e5
	s_mov_b32 s36, s0
	s_delay_alu instid0(VALU_DEP_4) | instskip(NEXT) | instid1(VALU_DEP_3)
	v_add_f64_e32 v[185:186], v[82:83], v[185:186]
	v_fma_f64 v[195:196], v[84:85], s[14:15], -v[92:93]
	v_fma_f64 v[92:93], v[84:85], s[14:15], v[92:93]
	s_delay_alu instid0(VALU_DEP_4)
	v_fma_f64 v[205:206], v[84:85], s[28:29], -v[94:95]
	v_fma_f64 v[84:85], v[84:85], s[28:29], v[94:95]
	v_add_f64_e32 v[94:95], v[82:83], v[175:176]
	v_add_f64_e32 v[175:176], v[80:81], v[195:196]
	;; [unrolled: 1-line block ×11, first 2 shown]
	v_fma_f64 v[80:81], v[169:170], s[28:29], v[88:89]
	v_mul_f64_e32 v[84:85], s[2:3], v[122:123]
	v_add_f64_e32 v[205:206], v[82:83], v[86:87]
	v_fma_f64 v[82:83], v[171:172], s[28:29], -v[90:91]
	v_fma_f64 v[88:89], v[169:170], s[28:29], -v[88:89]
	v_fma_f64 v[90:91], v[171:172], s[28:29], v[90:91]
	v_add_f64_e32 v[80:81], v[80:81], v[94:95]
	v_fma_f64 v[86:87], v[133:134], s[16:17], v[84:85]
	v_fma_f64 v[84:85], v[133:134], s[16:17], -v[84:85]
	v_add_f64_e32 v[82:83], v[82:83], v[175:176]
	v_add_f64_e32 v[88:89], v[88:89], v[100:101]
	;; [unrolled: 1-line block ×3, first 2 shown]
	v_mul_f64_e32 v[92:93], s[30:31], v[163:164]
	v_mul_f64_e32 v[100:101], s[26:27], v[122:123]
	v_add_f64_e32 v[80:81], v[86:87], v[80:81]
	v_mul_f64_e32 v[86:87], s[2:3], v[161:162]
	v_add_f64_e32 v[84:85], v[84:85], v[88:89]
	s_delay_alu instid0(VALU_DEP_2) | instskip(SKIP_1) | instid1(VALU_DEP_2)
	v_fma_f64 v[94:95], v[165:166], s[16:17], -v[86:87]
	v_fma_f64 v[86:87], v[165:166], s[16:17], v[86:87]
	v_add_f64_e32 v[82:83], v[94:95], v[82:83]
	v_mul_f64_e32 v[94:95], s[34:35], v[139:140]
	s_delay_alu instid0(VALU_DEP_3) | instskip(SKIP_1) | instid1(VALU_DEP_3)
	v_add_f64_e32 v[86:87], v[86:87], v[90:91]
	v_fma_f64 v[90:91], v[124:125], s[20:21], v[217:218]
	v_fma_f64 v[175:176], v[120:121], s[22:23], v[94:95]
	v_fma_f64 v[88:89], v[120:121], s[22:23], -v[94:95]
	v_mul_f64_e32 v[94:95], s[30:31], v[167:168]
	s_delay_alu instid0(VALU_DEP_3) | instskip(SKIP_1) | instid1(VALU_DEP_4)
	v_add_f64_e32 v[80:81], v[175:176], v[80:81]
	v_mul_f64_e32 v[175:176], s[34:35], v[110:111]
	v_add_f64_e32 v[84:85], v[88:89], v[84:85]
	s_delay_alu instid0(VALU_DEP_2) | instskip(SKIP_3) | instid1(VALU_DEP_4)
	v_fma_f64 v[209:210], v[108:109], s[22:23], -v[175:176]
	v_fma_f64 v[88:89], v[108:109], s[22:23], v[175:176]
	v_fma_f64 v[175:176], v[133:134], s[22:23], v[100:101]
	v_fma_f64 v[100:101], v[133:134], s[22:23], -v[100:101]
	v_add_f64_e32 v[82:83], v[209:210], v[82:83]
	v_mul_f64_e32 v[209:210], s[10:11], v[118:119]
	v_add_f64_e32 v[86:87], v[88:89], v[86:87]
	s_delay_alu instid0(VALU_DEP_2) | instskip(SKIP_1) | instid1(VALU_DEP_2)
	v_fma_f64 v[211:212], v[116:117], s[18:19], v[209:210]
	v_fma_f64 v[88:89], v[116:117], s[18:19], -v[209:210]
	v_add_f64_e32 v[80:81], v[211:212], v[80:81]
	v_mul_f64_e32 v[211:212], s[10:11], v[114:115]
	s_delay_alu instid0(VALU_DEP_3) | instskip(NEXT) | instid1(VALU_DEP_2)
	v_add_f64_e32 v[84:85], v[88:89], v[84:85]
	v_fma_f64 v[88:89], v[112:113], s[18:19], v[211:212]
	v_fma_f64 v[213:214], v[112:113], s[18:19], -v[211:212]
	v_mul_f64_e32 v[211:212], s[10:11], v[131:132]
	s_delay_alu instid0(VALU_DEP_3) | instskip(SKIP_1) | instid1(VALU_DEP_4)
	v_add_f64_e32 v[88:89], v[88:89], v[86:87]
	v_fma_f64 v[86:87], v[129:130], s[20:21], -v[215:216]
	v_add_f64_e32 v[213:214], v[213:214], v[82:83]
	v_fma_f64 v[82:83], v[129:130], s[20:21], v[215:216]
	s_delay_alu instid0(VALU_DEP_3)
	v_add_f64_e32 v[86:87], v[86:87], v[84:85]
	v_add_f64_e32 v[84:85], v[90:91], v[88:89]
	v_fma_f64 v[88:89], v[169:170], s[20:21], v[92:93]
	v_fma_f64 v[90:91], v[171:172], s[20:21], -v[94:95]
	v_fma_f64 v[92:93], v[169:170], s[20:21], -v[92:93]
	v_fma_f64 v[94:95], v[171:172], s[20:21], v[94:95]
	v_add_f64_e32 v[82:83], v[82:83], v[80:81]
	v_fma_f64 v[80:81], v[124:125], s[20:21], -v[217:218]
	v_add_f64_e32 v[88:89], v[88:89], v[177:178]
	v_add_f64_e32 v[90:91], v[90:91], v[195:196]
	;; [unrolled: 1-line block ×4, first 2 shown]
	v_mul_f64_e32 v[187:188], s[24:25], v[110:111]
	v_add_f64_e32 v[80:81], v[80:81], v[213:214]
	v_mul_f64_e32 v[213:214], s[10:11], v[126:127]
	v_add_f64_e32 v[88:89], v[175:176], v[88:89]
	;; [unrolled: 2-line block ×3, first 2 shown]
	s_delay_alu instid0(VALU_DEP_2) | instskip(SKIP_2) | instid1(VALU_DEP_3)
	v_fma_f64 v[177:178], v[165:166], s[22:23], -v[175:176]
	v_fma_f64 v[100:101], v[165:166], s[22:23], v[175:176]
	v_mul_f64_e32 v[175:176], s[38:39], v[163:164]
	v_add_f64_e32 v[90:91], v[177:178], v[90:91]
	s_wait_alu 0xfffe
	v_mul_f64_e32 v[177:178], s[36:37], v[139:140]
	s_delay_alu instid0(VALU_DEP_4) | instskip(NEXT) | instid1(VALU_DEP_2)
	v_add_f64_e32 v[94:95], v[100:101], v[94:95]
	v_fma_f64 v[195:196], v[120:121], s[14:15], v[177:178]
	v_fma_f64 v[100:101], v[120:121], s[14:15], -v[177:178]
	v_mul_f64_e32 v[177:178], s[38:39], v[167:168]
	s_delay_alu instid0(VALU_DEP_3) | instskip(SKIP_1) | instid1(VALU_DEP_4)
	v_add_f64_e32 v[88:89], v[195:196], v[88:89]
	v_mul_f64_e32 v[195:196], s[36:37], v[110:111]
	v_add_f64_e32 v[92:93], v[100:101], v[92:93]
	s_delay_alu instid0(VALU_DEP_2) | instskip(SKIP_2) | instid1(VALU_DEP_3)
	v_fma_f64 v[209:210], v[108:109], s[14:15], -v[195:196]
	v_fma_f64 v[100:101], v[108:109], s[14:15], v[195:196]
	v_mul_f64_e32 v[195:196], s[36:37], v[118:119]
	v_add_f64_e32 v[90:91], v[209:210], v[90:91]
	v_fma_f64 v[209:210], v[116:117], s[28:29], v[96:97]
	v_fma_f64 v[96:97], v[116:117], s[28:29], -v[96:97]
	v_add_f64_e32 v[94:95], v[100:101], v[94:95]
	v_fma_f64 v[100:101], v[133:134], s[28:29], v[149:150]
	v_fma_f64 v[149:150], v[133:134], s[28:29], -v[149:150]
	v_add_f64_e32 v[88:89], v[209:210], v[88:89]
	v_add_f64_e32 v[92:93], v[96:97], v[92:93]
	v_fma_f64 v[96:97], v[112:113], s[28:29], v[98:99]
	v_fma_f64 v[209:210], v[112:113], s[28:29], -v[98:99]
	v_fma_f64 v[98:99], v[124:125], s[18:19], v[213:214]
	s_delay_alu instid0(VALU_DEP_3) | instskip(SKIP_1) | instid1(VALU_DEP_4)
	v_add_f64_e32 v[96:97], v[96:97], v[94:95]
	v_fma_f64 v[94:95], v[129:130], s[18:19], -v[211:212]
	v_add_f64_e32 v[209:210], v[209:210], v[90:91]
	v_fma_f64 v[90:91], v[129:130], s[18:19], v[211:212]
	v_mul_f64_e32 v[211:212], s[34:35], v[126:127]
	v_mul_f64_e32 v[126:127], s[0:1], v[126:127]
	v_add_f64_e32 v[94:95], v[94:95], v[92:93]
	v_add_f64_e32 v[92:93], v[98:99], v[96:97]
	v_fma_f64 v[96:97], v[169:170], s[16:17], v[175:176]
	v_fma_f64 v[98:99], v[171:172], s[16:17], -v[177:178]
	v_add_f64_e32 v[90:91], v[90:91], v[88:89]
	v_fma_f64 v[88:89], v[124:125], s[18:19], -v[213:214]
	v_mul_f64_e32 v[213:214], s[10:11], v[163:164]
	v_fma_f64 v[175:176], v[169:170], s[16:17], -v[175:176]
	v_fma_f64 v[177:178], v[171:172], s[16:17], v[177:178]
	v_add_f64_e32 v[96:97], v[96:97], v[179:180]
	v_add_f64_e32 v[98:99], v[98:99], v[197:198]
	v_mul_f64_e32 v[179:180], s[24:25], v[139:140]
	v_mul_f64_e32 v[197:198], s[36:37], v[114:115]
	v_add_f64_e32 v[88:89], v[88:89], v[209:210]
	v_mul_f64_e32 v[209:210], s[34:35], v[131:132]
	v_add_f64_e32 v[175:176], v[175:176], v[199:200]
	v_add_f64_e32 v[177:178], v[177:178], v[189:190]
	v_mul_f64_e32 v[131:132], s[0:1], v[131:132]
	v_add_f64_e32 v[96:97], v[100:101], v[96:97]
	v_fma_f64 v[100:101], v[165:166], s[28:29], -v[151:152]
	v_fma_f64 v[151:152], v[165:166], s[28:29], v[151:152]
	v_add_f64_e32 v[149:150], v[149:150], v[175:176]
	v_fma_f64 v[175:176], v[120:121], s[20:21], -v[179:180]
	s_delay_alu instid0(VALU_DEP_4)
	v_add_f64_e32 v[98:99], v[100:101], v[98:99]
	v_fma_f64 v[100:101], v[120:121], s[20:21], v[179:180]
	v_add_f64_e32 v[151:152], v[151:152], v[177:178]
	v_fma_f64 v[177:178], v[124:125], s[22:23], v[211:212]
	;; [unrolled: 2-line block ×3, first 2 shown]
	v_add_f64_e32 v[96:97], v[100:101], v[96:97]
	v_fma_f64 v[100:101], v[108:109], s[20:21], -v[187:188]
	s_delay_alu instid0(VALU_DEP_3) | instskip(SKIP_1) | instid1(VALU_DEP_3)
	v_add_f64_e32 v[151:152], v[175:176], v[151:152]
	v_fma_f64 v[175:176], v[116:117], s[14:15], -v[195:196]
	v_add_f64_e32 v[98:99], v[100:101], v[98:99]
	v_fma_f64 v[100:101], v[116:117], s[14:15], v[195:196]
	s_delay_alu instid0(VALU_DEP_3) | instskip(SKIP_1) | instid1(VALU_DEP_3)
	v_add_f64_e32 v[149:150], v[175:176], v[149:150]
	v_fma_f64 v[175:176], v[112:113], s[14:15], v[197:198]
	v_add_f64_e32 v[96:97], v[100:101], v[96:97]
	v_fma_f64 v[100:101], v[112:113], s[14:15], -v[197:198]
	s_delay_alu instid0(VALU_DEP_3) | instskip(SKIP_1) | instid1(VALU_DEP_3)
	v_add_f64_e32 v[175:176], v[175:176], v[151:152]
	v_fma_f64 v[151:152], v[129:130], s[22:23], -v[209:210]
	v_add_f64_e32 v[100:101], v[100:101], v[98:99]
	v_fma_f64 v[98:99], v[129:130], s[22:23], v[209:210]
	s_delay_alu instid0(VALU_DEP_3) | instskip(SKIP_1) | instid1(VALU_DEP_3)
	v_add_f64_e32 v[151:152], v[151:152], v[149:150]
	v_add_f64_e32 v[149:150], v[177:178], v[175:176]
	;; [unrolled: 1-line block ×3, first 2 shown]
	v_fma_f64 v[96:97], v[124:125], s[22:23], -v[211:212]
	s_delay_alu instid0(VALU_DEP_1) | instskip(SKIP_1) | instid1(VALU_DEP_1)
	v_add_f64_e32 v[96:97], v[96:97], v[100:101]
	v_fma_f64 v[100:101], v[169:170], s[18:19], -v[213:214]
	v_add_f64_e32 v[100:101], v[100:101], v[173:174]
	v_mul_f64_e32 v[173:174], s[10:11], v[167:168]
	s_delay_alu instid0(VALU_DEP_1) | instskip(SKIP_1) | instid1(VALU_DEP_2)
	v_fma_f64 v[102:103], v[171:172], s[18:19], v[173:174]
	v_fma_f64 v[173:174], v[171:172], s[18:19], -v[173:174]
	v_add_f64_e32 v[102:103], v[102:103], v[193:194]
	v_mul_f64_e32 v[193:194], s[0:1], v[122:123]
	s_delay_alu instid0(VALU_DEP_3) | instskip(NEXT) | instid1(VALU_DEP_2)
	v_add_f64_e32 v[173:174], v[173:174], v[191:192]
	v_fma_f64 v[215:216], v[133:134], s[14:15], -v[193:194]
	s_delay_alu instid0(VALU_DEP_1) | instskip(SKIP_1) | instid1(VALU_DEP_1)
	v_add_f64_e32 v[100:101], v[215:216], v[100:101]
	v_mul_f64_e32 v[215:216], s[0:1], v[161:162]
	v_fma_f64 v[217:218], v[165:166], s[14:15], v[215:216]
	s_delay_alu instid0(VALU_DEP_1) | instskip(SKIP_2) | instid1(VALU_DEP_2)
	v_add_f64_e32 v[102:103], v[217:218], v[102:103]
	v_mul_f64_e32 v[217:218], s[38:39], v[139:140]
	v_mul_f64_e32 v[139:140], s[10:11], v[139:140]
	v_fma_f64 v[219:220], v[120:121], s[16:17], -v[217:218]
	s_delay_alu instid0(VALU_DEP_1) | instskip(SKIP_2) | instid1(VALU_DEP_2)
	v_add_f64_e32 v[100:101], v[219:220], v[100:101]
	v_mul_f64_e32 v[219:220], s[38:39], v[110:111]
	v_mul_f64_e32 v[110:111], s[10:11], v[110:111]
	v_fma_f64 v[221:222], v[108:109], s[16:17], v[219:220]
	s_delay_alu instid0(VALU_DEP_1) | instskip(SKIP_1) | instid1(VALU_DEP_1)
	v_add_f64_e32 v[102:103], v[221:222], v[102:103]
	v_mul_f64_e32 v[221:222], s[30:31], v[118:119]
	v_fma_f64 v[223:224], v[116:117], s[20:21], -v[221:222]
	s_delay_alu instid0(VALU_DEP_1) | instskip(SKIP_3) | instid1(VALU_DEP_1)
	v_add_f64_e32 v[100:101], v[223:224], v[100:101]
	v_mul_f64_e32 v[223:224], s[30:31], v[114:115]
	s_mov_b32 s31, 0x3fedeba7
	s_mov_b32 s30, s10
	v_fma_f64 v[225:226], v[112:113], s[20:21], v[223:224]
	s_delay_alu instid0(VALU_DEP_1) | instskip(SKIP_2) | instid1(VALU_DEP_2)
	v_add_f64_e32 v[225:226], v[225:226], v[102:103]
	v_fma_f64 v[102:103], v[129:130], s[28:29], -v[157:158]
	v_fma_f64 v[157:158], v[129:130], s[28:29], v[157:158]
	v_add_f64_e32 v[102:103], v[102:103], v[100:101]
	v_fma_f64 v[100:101], v[124:125], s[28:29], v[159:160]
	s_delay_alu instid0(VALU_DEP_1) | instskip(SKIP_1) | instid1(VALU_DEP_1)
	v_add_f64_e32 v[100:101], v[100:101], v[225:226]
	v_mul_f64_e32 v[225:226], s[0:1], v[163:164]
	v_fma_f64 v[227:228], v[169:170], s[14:15], -v[225:226]
	v_fma_f64 v[175:176], v[169:170], s[14:15], v[225:226]
	s_delay_alu instid0(VALU_DEP_2) | instskip(SKIP_1) | instid1(VALU_DEP_3)
	v_add_f64_e32 v[104:105], v[227:228], v[104:105]
	v_mul_f64_e32 v[227:228], s[0:1], v[167:168]
	v_add_f64_e32 v[175:176], v[175:176], v[181:182]
	v_mul_f64_e32 v[167:168], s[26:27], v[167:168]
	s_delay_alu instid0(VALU_DEP_3) | instskip(SKIP_1) | instid1(VALU_DEP_2)
	v_fma_f64 v[229:230], v[171:172], s[14:15], v[227:228]
	v_fma_f64 v[177:178], v[171:172], s[14:15], -v[227:228]
	v_add_f64_e32 v[106:107], v[229:230], v[106:107]
	s_wait_alu 0xfffe
	v_mul_f64_e32 v[229:230], s[30:31], v[122:123]
	s_delay_alu instid0(VALU_DEP_3) | instskip(SKIP_1) | instid1(VALU_DEP_3)
	v_add_f64_e32 v[177:178], v[177:178], v[201:202]
	v_mul_f64_e32 v[122:123], s[24:25], v[122:123]
	v_fma_f64 v[231:232], v[133:134], s[18:19], -v[229:230]
	v_fma_f64 v[179:180], v[133:134], s[18:19], v[229:230]
	s_delay_alu instid0(VALU_DEP_2) | instskip(SKIP_1) | instid1(VALU_DEP_3)
	v_add_f64_e32 v[104:105], v[231:232], v[104:105]
	v_mul_f64_e32 v[231:232], s[30:31], v[161:162]
	v_add_f64_e32 v[175:176], v[179:180], v[175:176]
	s_delay_alu instid0(VALU_DEP_2) | instskip(SKIP_1) | instid1(VALU_DEP_2)
	v_fma_f64 v[233:234], v[165:166], s[18:19], v[231:232]
	v_fma_f64 v[179:180], v[165:166], s[18:19], -v[231:232]
	v_add_f64_e32 v[106:107], v[233:234], v[106:107]
	v_fma_f64 v[233:234], v[120:121], s[28:29], -v[153:154]
	v_fma_f64 v[153:154], v[120:121], s[28:29], v[153:154]
	s_delay_alu instid0(VALU_DEP_4) | instskip(NEXT) | instid1(VALU_DEP_3)
	v_add_f64_e32 v[177:178], v[179:180], v[177:178]
	v_add_f64_e32 v[104:105], v[233:234], v[104:105]
	v_fma_f64 v[233:234], v[108:109], s[28:29], v[155:156]
	s_delay_alu instid0(VALU_DEP_4) | instskip(SKIP_1) | instid1(VALU_DEP_3)
	v_add_f64_e32 v[153:154], v[153:154], v[175:176]
	v_fma_f64 v[155:156], v[108:109], s[28:29], -v[155:156]
	v_add_f64_e32 v[106:107], v[233:234], v[106:107]
	v_mul_f64_e32 v[233:234], s[26:27], v[118:119]
	s_delay_alu instid0(VALU_DEP_3) | instskip(SKIP_2) | instid1(VALU_DEP_4)
	v_add_f64_e32 v[155:156], v[155:156], v[177:178]
	v_fma_f64 v[177:178], v[124:125], s[16:17], -v[241:242]
	v_mul_f64_e32 v[118:119], s[2:3], v[118:119]
	v_fma_f64 v[235:236], v[116:117], s[22:23], -v[233:234]
	v_fma_f64 v[175:176], v[116:117], s[22:23], v[233:234]
	s_delay_alu instid0(VALU_DEP_2) | instskip(SKIP_1) | instid1(VALU_DEP_3)
	v_add_f64_e32 v[104:105], v[235:236], v[104:105]
	v_mul_f64_e32 v[235:236], s[26:27], v[114:115]
	v_add_f64_e32 v[153:154], v[175:176], v[153:154]
	v_mul_f64_e32 v[114:115], s[2:3], v[114:115]
	s_delay_alu instid0(VALU_DEP_3) | instskip(SKIP_1) | instid1(VALU_DEP_2)
	v_fma_f64 v[175:176], v[112:113], s[22:23], -v[235:236]
	v_fma_f64 v[237:238], v[112:113], s[22:23], v[235:236]
	v_add_f64_e32 v[175:176], v[175:176], v[155:156]
	v_fma_f64 v[155:156], v[129:130], s[16:17], v[239:240]
	s_delay_alu instid0(VALU_DEP_3) | instskip(SKIP_1) | instid1(VALU_DEP_3)
	v_add_f64_e32 v[237:238], v[237:238], v[106:107]
	v_fma_f64 v[106:107], v[129:130], s[16:17], -v[239:240]
	v_add_f64_e32 v[155:156], v[155:156], v[153:154]
	v_add_f64_e32 v[153:154], v[177:178], v[175:176]
	v_fma_f64 v[175:176], v[169:170], s[18:19], v[213:214]
	v_fma_f64 v[177:178], v[133:134], s[14:15], v[193:194]
	v_add_f64_e32 v[106:107], v[106:107], v[104:105]
	v_fma_f64 v[104:105], v[124:125], s[16:17], v[241:242]
	s_delay_alu instid0(VALU_DEP_4) | instskip(NEXT) | instid1(VALU_DEP_2)
	v_add_f64_e32 v[175:176], v[175:176], v[183:184]
	v_add_f64_e32 v[104:105], v[104:105], v[237:238]
	s_delay_alu instid0(VALU_DEP_2) | instskip(SKIP_1) | instid1(VALU_DEP_1)
	v_add_f64_e32 v[175:176], v[177:178], v[175:176]
	v_fma_f64 v[177:178], v[165:166], s[14:15], -v[215:216]
	v_add_f64_e32 v[173:174], v[177:178], v[173:174]
	v_fma_f64 v[177:178], v[120:121], s[16:17], v[217:218]
	s_delay_alu instid0(VALU_DEP_1) | instskip(SKIP_1) | instid1(VALU_DEP_1)
	v_add_f64_e32 v[175:176], v[177:178], v[175:176]
	v_fma_f64 v[177:178], v[108:109], s[16:17], -v[219:220]
	v_add_f64_e32 v[173:174], v[177:178], v[173:174]
	v_fma_f64 v[177:178], v[116:117], s[20:21], v[221:222]
	s_delay_alu instid0(VALU_DEP_1) | instskip(SKIP_1) | instid1(VALU_DEP_1)
	v_add_f64_e32 v[175:176], v[177:178], v[175:176]
	v_fma_f64 v[177:178], v[112:113], s[20:21], -v[223:224]
	v_add_f64_e32 v[173:174], v[177:178], v[173:174]
	v_fma_f64 v[177:178], v[124:125], s[28:29], -v[159:160]
	s_delay_alu instid0(VALU_DEP_4) | instskip(SKIP_2) | instid1(VALU_DEP_4)
	v_add_f64_e32 v[159:160], v[157:158], v[175:176]
	v_fma_f64 v[175:176], v[171:172], s[22:23], v[167:168]
	v_fma_f64 v[167:168], v[171:172], s[22:23], -v[167:168]
	v_add_f64_e32 v[157:158], v[177:178], v[173:174]
	v_mul_f64_e32 v[173:174], s[26:27], v[163:164]
	v_fma_f64 v[177:178], v[133:134], s[20:21], -v[122:123]
	v_add_f64_e32 v[175:176], v[175:176], v[207:208]
	v_fma_f64 v[122:123], v[133:134], s[20:21], v[122:123]
	v_add_f64_e32 v[167:168], v[167:168], v[203:204]
	v_fma_f64 v[163:164], v[169:170], s[22:23], -v[173:174]
	v_fma_f64 v[169:170], v[169:170], s[22:23], v[173:174]
	s_delay_alu instid0(VALU_DEP_2) | instskip(NEXT) | instid1(VALU_DEP_2)
	v_add_f64_e32 v[163:164], v[163:164], v[205:206]
	v_add_f64_e32 v[133:134], v[169:170], v[185:186]
	s_delay_alu instid0(VALU_DEP_2) | instskip(SKIP_1) | instid1(VALU_DEP_3)
	v_add_f64_e32 v[163:164], v[177:178], v[163:164]
	v_mul_f64_e32 v[177:178], s[24:25], v[161:162]
	v_add_f64_e32 v[122:123], v[122:123], v[133:134]
	s_delay_alu instid0(VALU_DEP_2) | instskip(SKIP_1) | instid1(VALU_DEP_2)
	v_fma_f64 v[161:162], v[165:166], s[20:21], v[177:178]
	v_fma_f64 v[165:166], v[165:166], s[20:21], -v[177:178]
	v_add_f64_e32 v[161:162], v[161:162], v[175:176]
	v_fma_f64 v[175:176], v[120:121], s[18:19], -v[139:140]
	v_fma_f64 v[120:121], v[120:121], s[18:19], v[139:140]
	s_delay_alu instid0(VALU_DEP_2) | instskip(SKIP_3) | instid1(VALU_DEP_3)
	v_add_f64_e32 v[163:164], v[175:176], v[163:164]
	v_fma_f64 v[175:176], v[108:109], s[18:19], v[110:111]
	v_fma_f64 v[108:109], v[108:109], s[18:19], -v[110:111]
	v_add_f64_e32 v[110:111], v[165:166], v[167:168]
	v_add_f64_e32 v[161:162], v[175:176], v[161:162]
	v_fma_f64 v[175:176], v[116:117], s[16:17], -v[118:119]
	v_fma_f64 v[116:117], v[116:117], s[16:17], v[118:119]
	v_add_f64_e32 v[118:119], v[120:121], v[122:123]
	v_add_f64_e32 v[108:109], v[108:109], v[110:111]
	v_fma_f64 v[110:111], v[129:130], s[14:15], v[131:132]
	v_add_f64_e32 v[163:164], v[175:176], v[163:164]
	v_fma_f64 v[175:176], v[112:113], s[16:17], v[114:115]
	v_fma_f64 v[112:113], v[112:113], s[16:17], -v[114:115]
	v_add_f64_e32 v[114:115], v[116:117], v[118:119]
	v_fma_f64 v[116:117], v[124:125], s[14:15], -v[126:127]
	s_delay_alu instid0(VALU_DEP_4) | instskip(SKIP_4) | instid1(VALU_DEP_1)
	v_add_f64_e32 v[161:162], v[175:176], v[161:162]
	v_fma_f64 v[175:176], v[129:130], s[14:15], -v[131:132]
	v_add_f64_e32 v[108:109], v[112:113], v[108:109]
	v_add_f64_e32 v[110:111], v[110:111], v[114:115]
	v_and_b32_e32 v112, 0xffff, v128
	v_lshl_add_u32 v112, v112, 4, v246
	v_add_f64_e32 v[163:164], v[175:176], v[163:164]
	v_fma_f64 v[175:176], v[124:125], s[14:15], v[126:127]
	v_add_f64_e32 v[108:109], v[116:117], v[108:109]
	s_delay_alu instid0(VALU_DEP_2)
	v_add_f64_e32 v[161:162], v[175:176], v[161:162]
	ds_store_b128 v112, v[100:103] offset:32
	ds_store_b128 v112, v[104:107] offset:48
	;; [unrolled: 1-line block ×11, first 2 shown]
	ds_store_b128 v112, v[0:3]
	ds_store_b128 v112, v[108:111] offset:192
.LBB0_13:
	s_or_b32 exec_lo, exec_lo, s33
	global_wb scope:SCOPE_SE
	s_wait_dscnt 0x0
	s_barrier_signal -1
	s_barrier_wait -1
	global_inv scope:SCOPE_SE
	ds_load_b128 v[0:3], v141 offset:1248
	ds_load_b128 v[80:83], v141 offset:2496
	ds_load_b128 v[84:87], v141 offset:3744
	ds_load_b128 v[88:91], v141 offset:1664
	ds_load_b128 v[92:95], v141 offset:2912
	ds_load_b128 v[96:99], v141 offset:4160
	ds_load_b128 v[100:103], v141 offset:2080
	ds_load_b128 v[104:107], v141 offset:3328
	ds_load_b128 v[108:111], v141 offset:4576
	ds_load_b128 v[112:115], v141 offset:832
	s_mov_b32 s0, 0xe8584caa
	s_mov_b32 s1, 0xbfebb67a
	;; [unrolled: 1-line block ×3, first 2 shown]
	s_wait_alu 0xfffe
	s_mov_b32 s2, s0
	s_wait_dscnt 0x9
	v_mul_f64_e32 v[116:117], v[26:27], v[2:3]
	v_mul_f64_e32 v[26:27], v[26:27], v[0:1]
	s_wait_dscnt 0x8
	v_mul_f64_e32 v[118:119], v[22:23], v[82:83]
	v_mul_f64_e32 v[22:23], v[22:23], v[80:81]
	;; [unrolled: 3-line block ×9, first 2 shown]
	v_fma_f64 v[116:117], v[24:25], v[0:1], v[116:117]
	v_fma_f64 v[24:25], v[24:25], v[2:3], -v[26:27]
	v_fma_f64 v[26:27], v[20:21], v[80:81], v[118:119]
	v_fma_f64 v[20:21], v[20:21], v[82:83], -v[22:23]
	;; [unrolled: 2-line block ×9, first 2 shown]
	ds_load_b128 v[0:3], v141
	ds_load_b128 v[4:7], v141 offset:416
	global_wb scope:SCOPE_SE
	s_wait_dscnt 0x0
	s_barrier_signal -1
	s_barrier_wait -1
	global_inv scope:SCOPE_SE
	v_add_f64_e64 v[26:27], v[0:1], -v[26:27]
	v_add_f64_e64 v[30:31], v[2:3], -v[20:21]
	;; [unrolled: 1-line block ×12, first 2 shown]
	v_fma_f64 v[34:35], v[0:1], 2.0, -v[26:27]
	v_fma_f64 v[38:39], v[2:3], 2.0, -v[30:31]
	;; [unrolled: 1-line block ×4, first 2 shown]
	v_add_f64_e32 v[0:1], v[26:27], v[16:17]
	v_add_f64_e64 v[2:3], v[30:31], -v[20:21]
	v_fma_f64 v[90:91], v[4:5], 2.0, -v[84:85]
	v_fma_f64 v[92:93], v[6:7], 2.0, -v[86:87]
	;; [unrolled: 1-line block ×4, first 2 shown]
	v_add_f64_e32 v[4:5], v[84:85], v[8:9]
	v_fma_f64 v[94:95], v[112:113], 2.0, -v[80:81]
	v_fma_f64 v[96:97], v[114:115], 2.0, -v[88:89]
	;; [unrolled: 1-line block ×4, first 2 shown]
	v_add_f64_e32 v[16:17], v[80:81], v[28:29]
	v_add_f64_e64 v[8:9], v[34:35], -v[10:11]
	v_add_f64_e64 v[10:11], v[38:39], -v[14:15]
	;; [unrolled: 1-line block ×6, first 2 shown]
	v_fma_f64 v[28:29], v[84:85], 2.0, -v[4:5]
	v_add_f64_e64 v[20:21], v[94:95], -v[24:25]
	v_add_f64_e64 v[22:23], v[96:97], -v[36:37]
	v_fma_f64 v[24:25], v[26:27], 2.0, -v[0:1]
	v_fma_f64 v[26:27], v[30:31], 2.0, -v[2:3]
	v_fma_f64 v[80:81], v[80:81], 2.0, -v[16:17]
	v_fma_f64 v[32:33], v[34:35], 2.0, -v[8:9]
	v_fma_f64 v[34:35], v[38:39], 2.0, -v[10:11]
	v_fma_f64 v[36:37], v[90:91], 2.0, -v[12:13]
	v_fma_f64 v[38:39], v[92:93], 2.0, -v[14:15]
	v_fma_f64 v[30:31], v[86:87], 2.0, -v[6:7]
	v_fma_f64 v[82:83], v[88:89], 2.0, -v[18:19]
	v_fma_f64 v[84:85], v[94:95], 2.0, -v[20:21]
	v_fma_f64 v[86:87], v[96:97], 2.0, -v[22:23]
	ds_store_b128 v146, v[8:11] offset:416
	ds_store_b128 v146, v[0:3] offset:624
	ds_store_b128 v146, v[32:35]
	ds_store_b128 v146, v[24:27] offset:208
	ds_store_b128 v145, v[36:39]
	ds_store_b128 v145, v[28:31] offset:208
	ds_store_b128 v145, v[12:15] offset:416
	;; [unrolled: 1-line block ×3, first 2 shown]
	ds_store_b128 v144, v[84:87]
	ds_store_b128 v144, v[80:83] offset:208
	ds_store_b128 v144, v[20:23] offset:416
	;; [unrolled: 1-line block ×3, first 2 shown]
	global_wb scope:SCOPE_SE
	s_wait_dscnt 0x0
	s_barrier_signal -1
	s_barrier_wait -1
	global_inv scope:SCOPE_SE
	ds_load_b128 v[0:3], v141 offset:1664
	ds_load_b128 v[4:7], v141 offset:3328
	ds_load_b128 v[8:11], v141 offset:2080
	ds_load_b128 v[12:15], v141 offset:3744
	ds_load_b128 v[16:19], v141 offset:2496
	ds_load_b128 v[20:23], v141 offset:4160
	ds_load_b128 v[24:27], v141 offset:2912
	ds_load_b128 v[28:31], v141 offset:4576
	s_wait_dscnt 0x7
	v_mul_f64_e32 v[32:33], v[46:47], v[2:3]
	v_mul_f64_e32 v[34:35], v[46:47], v[0:1]
	s_wait_dscnt 0x6
	v_mul_f64_e32 v[36:37], v[42:43], v[6:7]
	v_mul_f64_e32 v[38:39], v[42:43], v[4:5]
	;; [unrolled: 3-line block ×4, first 2 shown]
	s_wait_dscnt 0x3
	v_mul_f64_e32 v[88:89], v[46:47], v[18:19]
	s_wait_dscnt 0x2
	v_mul_f64_e32 v[90:91], v[42:43], v[22:23]
	v_mul_f64_e32 v[46:47], v[46:47], v[16:17]
	v_mul_f64_e32 v[42:43], v[42:43], v[20:21]
	s_wait_dscnt 0x1
	v_mul_f64_e32 v[92:93], v[54:55], v[26:27]
	v_mul_f64_e32 v[54:55], v[54:55], v[24:25]
	s_wait_dscnt 0x0
	v_mul_f64_e32 v[94:95], v[50:51], v[30:31]
	v_mul_f64_e32 v[50:51], v[50:51], v[28:29]
	v_fma_f64 v[32:33], v[44:45], v[0:1], v[32:33]
	v_fma_f64 v[34:35], v[44:45], v[2:3], -v[34:35]
	v_fma_f64 v[36:37], v[40:41], v[4:5], v[36:37]
	v_fma_f64 v[38:39], v[40:41], v[6:7], -v[38:39]
	;; [unrolled: 2-line block ×4, first 2 shown]
	v_fma_f64 v[16:17], v[44:45], v[16:17], v[88:89]
	v_fma_f64 v[20:21], v[40:41], v[20:21], v[90:91]
	v_fma_f64 v[18:19], v[44:45], v[18:19], -v[46:47]
	v_fma_f64 v[22:23], v[40:41], v[22:23], -v[42:43]
	v_fma_f64 v[24:25], v[52:53], v[24:25], v[92:93]
	v_fma_f64 v[26:27], v[52:53], v[26:27], -v[54:55]
	v_fma_f64 v[28:29], v[48:49], v[28:29], v[94:95]
	v_fma_f64 v[30:31], v[48:49], v[30:31], -v[50:51]
	ds_load_b128 v[0:3], v141
	ds_load_b128 v[4:7], v141 offset:416
	ds_load_b128 v[8:11], v141 offset:832
	;; [unrolled: 1-line block ×3, first 2 shown]
	global_wb scope:SCOPE_SE
	s_wait_dscnt 0x0
	s_barrier_signal -1
	s_barrier_wait -1
	global_inv scope:SCOPE_SE
	v_add_f64_e32 v[88:89], v[0:1], v[32:33]
	v_add_f64_e32 v[40:41], v[32:33], v[36:37]
	;; [unrolled: 1-line block ×3, first 2 shown]
	v_add_f64_e64 v[90:91], v[34:35], -v[38:39]
	v_add_f64_e32 v[34:35], v[2:3], v[34:35]
	v_add_f64_e32 v[44:45], v[80:81], v[84:85]
	;; [unrolled: 1-line block ×13, first 2 shown]
	v_add_f64_e64 v[32:33], v[32:33], -v[36:37]
	v_add_f64_e64 v[82:83], v[82:83], -v[86:87]
	;; [unrolled: 1-line block ×7, first 2 shown]
	v_fma_f64 v[40:41], v[40:41], -0.5, v[0:1]
	v_fma_f64 v[42:43], v[42:43], -0.5, v[2:3]
	v_add_f64_e32 v[0:1], v[88:89], v[36:37]
	v_add_f64_e32 v[2:3], v[34:35], v[38:39]
	v_fma_f64 v[44:45], v[44:45], -0.5, v[4:5]
	v_fma_f64 v[46:47], v[46:47], -0.5, v[6:7]
	v_add_f64_e32 v[4:5], v[92:93], v[84:85]
	v_fma_f64 v[48:49], v[48:49], -0.5, v[8:9]
	v_add_f64_e32 v[6:7], v[94:95], v[86:87]
	;; [unrolled: 2-line block ×3, first 2 shown]
	v_add_f64_e32 v[10:11], v[98:99], v[22:23]
	v_fma_f64 v[52:53], v[52:53], -0.5, v[12:13]
	v_fma_f64 v[54:55], v[54:55], -0.5, v[14:15]
	v_add_f64_e32 v[12:13], v[100:101], v[28:29]
	v_add_f64_e32 v[14:15], v[102:103], v[30:31]
	v_fma_f64 v[16:17], v[90:91], s[0:1], v[40:41]
	s_wait_alu 0xfffe
	v_fma_f64 v[18:19], v[32:33], s[2:3], v[42:43]
	v_fma_f64 v[20:21], v[90:91], s[2:3], v[40:41]
	;; [unrolled: 1-line block ×15, first 2 shown]
	ds_store_b128 v141, v[0:3]
	ds_store_b128 v141, v[4:7] offset:416
	ds_store_b128 v141, v[8:11] offset:2496
	ds_store_b128 v141, v[12:15] offset:2912
	ds_store_b128 v141, v[16:19] offset:832
	ds_store_b128 v141, v[24:27] offset:1248
	ds_store_b128 v141, v[20:23] offset:1664
	ds_store_b128 v141, v[28:31] offset:2080
	ds_store_b128 v141, v[32:35] offset:3328
	ds_store_b128 v141, v[40:43] offset:3744
	ds_store_b128 v141, v[36:39] offset:4160
	ds_store_b128 v141, v[44:47] offset:4576
	global_wb scope:SCOPE_SE
	s_wait_dscnt 0x0
	s_barrier_signal -1
	s_barrier_wait -1
	global_inv scope:SCOPE_SE
	ds_load_b128 v[0:3], v141 offset:2496
	ds_load_b128 v[4:7], v141 offset:2912
	;; [unrolled: 1-line block ×6, first 2 shown]
	s_wait_dscnt 0x5
	v_mul_f64_e32 v[24:25], v[58:59], v[2:3]
	v_mul_f64_e32 v[26:27], v[58:59], v[0:1]
	s_wait_dscnt 0x4
	v_mul_f64_e32 v[28:29], v[62:63], v[6:7]
	v_mul_f64_e32 v[30:31], v[62:63], v[4:5]
	;; [unrolled: 3-line block ×6, first 2 shown]
	v_fma_f64 v[24:25], v[56:57], v[0:1], v[24:25]
	v_fma_f64 v[26:27], v[56:57], v[2:3], -v[26:27]
	v_fma_f64 v[28:29], v[60:61], v[4:5], v[28:29]
	v_fma_f64 v[30:31], v[60:61], v[6:7], -v[30:31]
	;; [unrolled: 2-line block ×6, first 2 shown]
	ds_load_b128 v[0:3], v141
	ds_load_b128 v[4:7], v141 offset:416
	ds_load_b128 v[8:11], v141 offset:832
	;; [unrolled: 1-line block ×5, first 2 shown]
	s_wait_dscnt 0x5
	v_add_f64_e64 v[24:25], v[0:1], -v[24:25]
	v_add_f64_e64 v[26:27], v[2:3], -v[26:27]
	s_wait_dscnt 0x4
	v_add_f64_e64 v[28:29], v[4:5], -v[28:29]
	v_add_f64_e64 v[30:31], v[6:7], -v[30:31]
	s_wait_dscnt 0x3
	v_add_f64_e64 v[32:33], v[8:9], -v[32:33]
	v_add_f64_e64 v[34:35], v[10:11], -v[34:35]
	s_wait_dscnt 0x2
	v_add_f64_e64 v[36:37], v[12:13], -v[36:37]
	v_add_f64_e64 v[38:39], v[14:15], -v[38:39]
	s_wait_dscnt 0x1
	v_add_f64_e64 v[40:41], v[16:17], -v[40:41]
	v_add_f64_e64 v[42:43], v[18:19], -v[42:43]
	s_wait_dscnt 0x0
	v_add_f64_e64 v[44:45], v[20:21], -v[44:45]
	v_add_f64_e64 v[46:47], v[22:23], -v[46:47]
	v_fma_f64 v[0:1], v[0:1], 2.0, -v[24:25]
	v_fma_f64 v[2:3], v[2:3], 2.0, -v[26:27]
	;; [unrolled: 1-line block ×12, first 2 shown]
	ds_store_b128 v143, v[28:31] offset:2912
	ds_store_b128 v143, v[32:35] offset:3328
	;; [unrolled: 1-line block ×3, first 2 shown]
	ds_store_b128 v143, v[0:3]
	ds_store_b128 v143, v[4:7] offset:416
	ds_store_b128 v143, v[8:11] offset:832
	;; [unrolled: 1-line block ×8, first 2 shown]
	global_wb scope:SCOPE_SE
	s_wait_dscnt 0x0
	s_barrier_signal -1
	s_barrier_wait -1
	global_inv scope:SCOPE_SE
	s_and_b32 exec_lo, exec_lo, vcc_lo
	s_cbranch_execz .LBB0_15
; %bb.14:
	s_clause 0xc
	global_load_b128 v[0:3], v138, s[12:13]
	global_load_b128 v[4:7], v138, s[12:13] offset:384
	global_load_b128 v[8:11], v138, s[12:13] offset:768
	global_load_b128 v[12:15], v138, s[12:13] offset:1152
	global_load_b128 v[16:19], v138, s[12:13] offset:1536
	global_load_b128 v[20:23], v138, s[12:13] offset:1920
	global_load_b128 v[24:27], v138, s[12:13] offset:2304
	global_load_b128 v[28:31], v138, s[12:13] offset:2688
	global_load_b128 v[32:35], v138, s[12:13] offset:3072
	global_load_b128 v[36:39], v138, s[12:13] offset:3456
	global_load_b128 v[40:43], v138, s[12:13] offset:3840
	global_load_b128 v[44:47], v138, s[12:13] offset:4224
	global_load_b128 v[48:51], v138, s[12:13] offset:4608
	v_mad_co_u64_u32 v[100:101], null, s6, v245, 0
	v_mad_co_u64_u32 v[104:105], null, s4, v136, 0
	v_lshl_add_u32 v114, v137, 4, v142
	ds_load_b128 v[52:55], v143
	ds_load_b128 v[56:59], v114 offset:384
	v_mov_b32_e32 v60, v101
	v_mov_b32_e32 v76, v105
	v_mad_co_u64_u32 v[106:107], null, s4, v135, 0
	v_mad_co_u64_u32 v[108:109], null, s4, v255, 0
	s_delay_alu instid0(VALU_DEP_4) | instskip(NEXT) | instid1(VALU_DEP_4)
	v_mad_co_u64_u32 v[84:85], null, s7, v245, v[60:61]
	v_mad_co_u64_u32 v[102:103], null, s5, v136, v[76:77]
	ds_load_b128 v[60:63], v114 offset:768
	ds_load_b128 v[64:67], v114 offset:1152
	;; [unrolled: 1-line block ×6, first 2 shown]
	s_mul_u64 s[0:1], s[4:5], 0x180
	v_mad_co_u64_u32 v[110:111], null, s4, v243, 0
	v_mov_b32_e32 v101, v84
	v_mov_b32_e32 v105, v102
	ds_load_b128 v[84:87], v114 offset:3072
	ds_load_b128 v[88:91], v114 offset:3456
	;; [unrolled: 1-line block ×4, first 2 shown]
	s_mov_b32 s2, 0x1a41a41a
	s_mov_b32 s3, 0x3f6a41a4
	v_lshlrev_b64_e32 v[112:113], 4, v[100:101]
	ds_load_b128 v[100:103], v114 offset:4608
	v_lshlrev_b64_e32 v[104:105], 4, v[104:105]
	v_mad_co_u64_u32 v[143:144], null, s5, v255, v[109:110]
	s_mul_i32 s6, s5, 0x300
	v_add_co_u32 v149, vcc_lo, s8, v112
	s_wait_alu 0xfffd
	v_add_co_ci_u32_e32 v150, vcc_lo, s9, v113, vcc_lo
	v_mad_co_u64_u32 v[112:113], null, s5, v135, v[107:108]
	s_delay_alu instid0(VALU_DEP_3) | instskip(SKIP_1) | instid1(VALU_DEP_3)
	v_add_co_u32 v104, vcc_lo, v149, v104
	s_wait_alu 0xfffd
	v_add_co_ci_u32_e32 v105, vcc_lo, v150, v105, vcc_lo
	v_mov_b32_e32 v109, v143
	s_wait_alu 0xfffe
	v_add_co_u32 v113, vcc_lo, v104, s0
	s_wait_alu 0xfffd
	v_add_co_ci_u32_e32 v114, vcc_lo, s1, v105, vcc_lo
	v_mad_co_u64_u32 v[146:147], null, s5, v243, v[111:112]
	s_delay_alu instid0(VALU_DEP_3) | instskip(SKIP_1) | instid1(VALU_DEP_3)
	v_add_co_u32 v141, vcc_lo, v113, s0
	s_wait_alu 0xfffd
	v_add_co_ci_u32_e32 v142, vcc_lo, s1, v114, vcc_lo
	s_delay_alu instid0(VALU_DEP_2) | instskip(SKIP_1) | instid1(VALU_DEP_2)
	v_add_co_u32 v144, vcc_lo, v141, s0
	s_wait_alu 0xfffd
	v_add_co_ci_u32_e32 v145, vcc_lo, s1, v142, vcc_lo
	v_mov_b32_e32 v111, v146
	s_delay_alu instid0(VALU_DEP_2) | instskip(NEXT) | instid1(VALU_DEP_1)
	v_mad_co_u64_u32 v[147:148], null, 0x300, s4, v[144:145]
	v_dual_mov_b32 v107, v112 :: v_dual_add_nc_u32 v148, s6, v148
	s_wait_loadcnt_dscnt 0xc0c
	v_mul_f64_e32 v[115:116], v[54:55], v[2:3]
	v_mul_f64_e32 v[2:3], v[52:53], v[2:3]
	s_wait_loadcnt_dscnt 0xb0b
	v_mul_f64_e32 v[117:118], v[58:59], v[6:7]
	v_mul_f64_e32 v[6:7], v[56:57], v[6:7]
	;; [unrolled: 3-line block ×13, first 2 shown]
	v_fma_f64 v[52:53], v[52:53], v[0:1], v[115:116]
	v_fma_f64 v[2:3], v[0:1], v[54:55], -v[2:3]
	v_fma_f64 v[54:55], v[56:57], v[4:5], v[117:118]
	v_fma_f64 v[6:7], v[4:5], v[58:59], -v[6:7]
	;; [unrolled: 2-line block ×13, first 2 shown]
	v_add_co_u32 v78, vcc_lo, v147, s0
	s_wait_alu 0xfffd
	v_add_co_ci_u32_e32 v79, vcc_lo, s1, v148, vcc_lo
	v_lshlrev_b64_e32 v[80:81], 4, v[106:107]
	s_delay_alu instid0(VALU_DEP_3) | instskip(SKIP_1) | instid1(VALU_DEP_3)
	v_add_co_u32 v82, vcc_lo, v78, s0
	s_wait_alu 0xfffd
	v_add_co_ci_u32_e32 v83, vcc_lo, s1, v79, vcc_lo
	v_mul_f64_e32 v[0:1], s[2:3], v[52:53]
	v_mul_f64_e32 v[2:3], s[2:3], v[2:3]
	;; [unrolled: 1-line block ×26, first 2 shown]
	v_mad_co_u64_u32 v[52:53], null, 0x300, s4, v[82:83]
	v_lshlrev_b64_e32 v[54:55], 4, v[108:109]
	v_add_co_u32 v58, vcc_lo, v149, v80
	s_wait_alu 0xfffd
	v_add_co_ci_u32_e32 v59, vcc_lo, v150, v81, vcc_lo
	v_lshlrev_b64_e32 v[56:57], 4, v[110:111]
	v_add_nc_u32_e32 v53, s6, v53
	v_add_co_u32 v54, vcc_lo, v149, v54
	s_wait_alu 0xfffd
	v_add_co_ci_u32_e32 v55, vcc_lo, v150, v55, vcc_lo
	v_add_co_u32 v60, vcc_lo, v52, s0
	s_wait_alu 0xfffd
	v_add_co_ci_u32_e32 v61, vcc_lo, s1, v53, vcc_lo
	;; [unrolled: 3-line block ×4, first 2 shown]
	s_clause 0x5
	global_store_b128 v[104:105], v[0:3], off
	global_store_b128 v[113:114], v[4:7], off
	;; [unrolled: 1-line block ×13, first 2 shown]
.LBB0_15:
	s_nop 0
	s_sendmsg sendmsg(MSG_DEALLOC_VGPRS)
	s_endpgm
	.section	.rodata,"a",@progbits
	.p2align	6, 0x0
	.amdhsa_kernel bluestein_single_back_len312_dim1_dp_op_CI_CI
		.amdhsa_group_segment_fixed_size 9984
		.amdhsa_private_segment_fixed_size 20
		.amdhsa_kernarg_size 104
		.amdhsa_user_sgpr_count 2
		.amdhsa_user_sgpr_dispatch_ptr 0
		.amdhsa_user_sgpr_queue_ptr 0
		.amdhsa_user_sgpr_kernarg_segment_ptr 1
		.amdhsa_user_sgpr_dispatch_id 0
		.amdhsa_user_sgpr_private_segment_size 0
		.amdhsa_wavefront_size32 1
		.amdhsa_uses_dynamic_stack 0
		.amdhsa_enable_private_segment 1
		.amdhsa_system_sgpr_workgroup_id_x 1
		.amdhsa_system_sgpr_workgroup_id_y 0
		.amdhsa_system_sgpr_workgroup_id_z 0
		.amdhsa_system_sgpr_workgroup_info 0
		.amdhsa_system_vgpr_workitem_id 0
		.amdhsa_next_free_vgpr 256
		.amdhsa_next_free_sgpr 46
		.amdhsa_reserve_vcc 1
		.amdhsa_float_round_mode_32 0
		.amdhsa_float_round_mode_16_64 0
		.amdhsa_float_denorm_mode_32 3
		.amdhsa_float_denorm_mode_16_64 3
		.amdhsa_fp16_overflow 0
		.amdhsa_workgroup_processor_mode 1
		.amdhsa_memory_ordered 1
		.amdhsa_forward_progress 0
		.amdhsa_round_robin_scheduling 0
		.amdhsa_exception_fp_ieee_invalid_op 0
		.amdhsa_exception_fp_denorm_src 0
		.amdhsa_exception_fp_ieee_div_zero 0
		.amdhsa_exception_fp_ieee_overflow 0
		.amdhsa_exception_fp_ieee_underflow 0
		.amdhsa_exception_fp_ieee_inexact 0
		.amdhsa_exception_int_div_zero 0
	.end_amdhsa_kernel
	.text
.Lfunc_end0:
	.size	bluestein_single_back_len312_dim1_dp_op_CI_CI, .Lfunc_end0-bluestein_single_back_len312_dim1_dp_op_CI_CI
                                        ; -- End function
	.section	.AMDGPU.csdata,"",@progbits
; Kernel info:
; codeLenInByte = 15172
; NumSgprs: 48
; NumVgprs: 256
; ScratchSize: 20
; MemoryBound: 0
; FloatMode: 240
; IeeeMode: 1
; LDSByteSize: 9984 bytes/workgroup (compile time only)
; SGPRBlocks: 5
; VGPRBlocks: 31
; NumSGPRsForWavesPerEU: 48
; NumVGPRsForWavesPerEU: 256
; Occupancy: 5
; WaveLimiterHint : 1
; COMPUTE_PGM_RSRC2:SCRATCH_EN: 1
; COMPUTE_PGM_RSRC2:USER_SGPR: 2
; COMPUTE_PGM_RSRC2:TRAP_HANDLER: 0
; COMPUTE_PGM_RSRC2:TGID_X_EN: 1
; COMPUTE_PGM_RSRC2:TGID_Y_EN: 0
; COMPUTE_PGM_RSRC2:TGID_Z_EN: 0
; COMPUTE_PGM_RSRC2:TIDIG_COMP_CNT: 0
	.text
	.p2alignl 7, 3214868480
	.fill 96, 4, 3214868480
	.type	__hip_cuid_3151f7f2cc6e5ea2,@object ; @__hip_cuid_3151f7f2cc6e5ea2
	.section	.bss,"aw",@nobits
	.globl	__hip_cuid_3151f7f2cc6e5ea2
__hip_cuid_3151f7f2cc6e5ea2:
	.byte	0                               ; 0x0
	.size	__hip_cuid_3151f7f2cc6e5ea2, 1

	.ident	"AMD clang version 19.0.0git (https://github.com/RadeonOpenCompute/llvm-project roc-6.4.0 25133 c7fe45cf4b819c5991fe208aaa96edf142730f1d)"
	.section	".note.GNU-stack","",@progbits
	.addrsig
	.addrsig_sym __hip_cuid_3151f7f2cc6e5ea2
	.amdgpu_metadata
---
amdhsa.kernels:
  - .args:
      - .actual_access:  read_only
        .address_space:  global
        .offset:         0
        .size:           8
        .value_kind:     global_buffer
      - .actual_access:  read_only
        .address_space:  global
        .offset:         8
        .size:           8
        .value_kind:     global_buffer
      - .actual_access:  read_only
        .address_space:  global
        .offset:         16
        .size:           8
        .value_kind:     global_buffer
      - .actual_access:  read_only
        .address_space:  global
        .offset:         24
        .size:           8
        .value_kind:     global_buffer
      - .actual_access:  read_only
        .address_space:  global
        .offset:         32
        .size:           8
        .value_kind:     global_buffer
      - .offset:         40
        .size:           8
        .value_kind:     by_value
      - .address_space:  global
        .offset:         48
        .size:           8
        .value_kind:     global_buffer
      - .address_space:  global
        .offset:         56
        .size:           8
        .value_kind:     global_buffer
      - .address_space:  global
        .offset:         64
        .size:           8
        .value_kind:     global_buffer
      - .address_space:  global
        .offset:         72
        .size:           8
        .value_kind:     global_buffer
      - .offset:         80
        .size:           4
        .value_kind:     by_value
      - .address_space:  global
        .offset:         88
        .size:           8
        .value_kind:     global_buffer
      - .address_space:  global
        .offset:         96
        .size:           8
        .value_kind:     global_buffer
    .group_segment_fixed_size: 9984
    .kernarg_segment_align: 8
    .kernarg_segment_size: 104
    .language:       OpenCL C
    .language_version:
      - 2
      - 0
    .max_flat_workgroup_size: 52
    .name:           bluestein_single_back_len312_dim1_dp_op_CI_CI
    .private_segment_fixed_size: 20
    .sgpr_count:     48
    .sgpr_spill_count: 0
    .symbol:         bluestein_single_back_len312_dim1_dp_op_CI_CI.kd
    .uniform_work_group_size: 1
    .uses_dynamic_stack: false
    .vgpr_count:     256
    .vgpr_spill_count: 4
    .wavefront_size: 32
    .workgroup_processor_mode: 1
amdhsa.target:   amdgcn-amd-amdhsa--gfx1201
amdhsa.version:
  - 1
  - 2
...

	.end_amdgpu_metadata
